;; amdgpu-corpus repo=ROCm/rocFFT kind=compiled arch=gfx906 opt=O3
	.text
	.amdgcn_target "amdgcn-amd-amdhsa--gfx906"
	.amdhsa_code_object_version 6
	.protected	fft_rtc_back_len1452_factors_11_3_11_4_wgs_132_tpt_132_halfLds_dp_ip_CI_unitstride_sbrr_R2C_dirReg ; -- Begin function fft_rtc_back_len1452_factors_11_3_11_4_wgs_132_tpt_132_halfLds_dp_ip_CI_unitstride_sbrr_R2C_dirReg
	.globl	fft_rtc_back_len1452_factors_11_3_11_4_wgs_132_tpt_132_halfLds_dp_ip_CI_unitstride_sbrr_R2C_dirReg
	.p2align	8
	.type	fft_rtc_back_len1452_factors_11_3_11_4_wgs_132_tpt_132_halfLds_dp_ip_CI_unitstride_sbrr_R2C_dirReg,@function
fft_rtc_back_len1452_factors_11_3_11_4_wgs_132_tpt_132_halfLds_dp_ip_CI_unitstride_sbrr_R2C_dirReg: ; @fft_rtc_back_len1452_factors_11_3_11_4_wgs_132_tpt_132_halfLds_dp_ip_CI_unitstride_sbrr_R2C_dirReg
; %bb.0:
	s_load_dwordx2 s[12:13], s[4:5], 0x50
	s_load_dwordx4 s[8:11], s[4:5], 0x0
	s_load_dwordx2 s[2:3], s[4:5], 0x18
	v_mul_u32_u24_e32 v1, 0x1f1, v0
	v_add_u32_sdwa v5, s6, v1 dst_sel:DWORD dst_unused:UNUSED_PAD src0_sel:DWORD src1_sel:WORD_1
	v_mov_b32_e32 v3, 0
	s_waitcnt lgkmcnt(0)
	v_cmp_lt_u64_e64 s[0:1], s[10:11], 2
	v_mov_b32_e32 v1, 0
	v_mov_b32_e32 v6, v3
	s_and_b64 vcc, exec, s[0:1]
	v_mov_b32_e32 v2, 0
	s_cbranch_vccnz .LBB0_8
; %bb.1:
	s_load_dwordx2 s[0:1], s[4:5], 0x10
	s_add_u32 s6, s2, 8
	s_addc_u32 s7, s3, 0
	v_mov_b32_e32 v1, 0
	v_mov_b32_e32 v2, 0
	s_waitcnt lgkmcnt(0)
	s_add_u32 s14, s0, 8
	s_addc_u32 s15, s1, 0
	s_mov_b64 s[16:17], 1
.LBB0_2:                                ; =>This Inner Loop Header: Depth=1
	s_load_dwordx2 s[18:19], s[14:15], 0x0
                                        ; implicit-def: $vgpr7_vgpr8
	s_waitcnt lgkmcnt(0)
	v_or_b32_e32 v4, s19, v6
	v_cmp_ne_u64_e32 vcc, 0, v[3:4]
	s_and_saveexec_b64 s[0:1], vcc
	s_xor_b64 s[20:21], exec, s[0:1]
	s_cbranch_execz .LBB0_4
; %bb.3:                                ;   in Loop: Header=BB0_2 Depth=1
	v_cvt_f32_u32_e32 v4, s18
	v_cvt_f32_u32_e32 v7, s19
	s_sub_u32 s0, 0, s18
	s_subb_u32 s1, 0, s19
	v_mac_f32_e32 v4, 0x4f800000, v7
	v_rcp_f32_e32 v4, v4
	v_mul_f32_e32 v4, 0x5f7ffffc, v4
	v_mul_f32_e32 v7, 0x2f800000, v4
	v_trunc_f32_e32 v7, v7
	v_mac_f32_e32 v4, 0xcf800000, v7
	v_cvt_u32_f32_e32 v7, v7
	v_cvt_u32_f32_e32 v4, v4
	v_mul_lo_u32 v8, s0, v7
	v_mul_hi_u32 v9, s0, v4
	v_mul_lo_u32 v11, s1, v4
	v_mul_lo_u32 v10, s0, v4
	v_add_u32_e32 v8, v9, v8
	v_add_u32_e32 v8, v8, v11
	v_mul_hi_u32 v9, v4, v10
	v_mul_lo_u32 v11, v4, v8
	v_mul_hi_u32 v13, v4, v8
	v_mul_hi_u32 v12, v7, v10
	v_mul_lo_u32 v10, v7, v10
	v_mul_hi_u32 v14, v7, v8
	v_add_co_u32_e32 v9, vcc, v9, v11
	v_addc_co_u32_e32 v11, vcc, 0, v13, vcc
	v_mul_lo_u32 v8, v7, v8
	v_add_co_u32_e32 v9, vcc, v9, v10
	v_addc_co_u32_e32 v9, vcc, v11, v12, vcc
	v_addc_co_u32_e32 v10, vcc, 0, v14, vcc
	v_add_co_u32_e32 v8, vcc, v9, v8
	v_addc_co_u32_e32 v9, vcc, 0, v10, vcc
	v_add_co_u32_e32 v4, vcc, v4, v8
	v_addc_co_u32_e32 v7, vcc, v7, v9, vcc
	v_mul_lo_u32 v8, s0, v7
	v_mul_hi_u32 v9, s0, v4
	v_mul_lo_u32 v10, s1, v4
	v_mul_lo_u32 v11, s0, v4
	v_add_u32_e32 v8, v9, v8
	v_add_u32_e32 v8, v8, v10
	v_mul_lo_u32 v12, v4, v8
	v_mul_hi_u32 v13, v4, v11
	v_mul_hi_u32 v14, v4, v8
	;; [unrolled: 1-line block ×3, first 2 shown]
	v_mul_lo_u32 v11, v7, v11
	v_mul_hi_u32 v9, v7, v8
	v_add_co_u32_e32 v12, vcc, v13, v12
	v_addc_co_u32_e32 v13, vcc, 0, v14, vcc
	v_mul_lo_u32 v8, v7, v8
	v_add_co_u32_e32 v11, vcc, v12, v11
	v_addc_co_u32_e32 v10, vcc, v13, v10, vcc
	v_addc_co_u32_e32 v9, vcc, 0, v9, vcc
	v_add_co_u32_e32 v8, vcc, v10, v8
	v_addc_co_u32_e32 v9, vcc, 0, v9, vcc
	v_add_co_u32_e32 v4, vcc, v4, v8
	v_addc_co_u32_e32 v9, vcc, v7, v9, vcc
	v_mad_u64_u32 v[7:8], s[0:1], v5, v9, 0
	v_mul_hi_u32 v10, v5, v4
	v_add_co_u32_e32 v11, vcc, v10, v7
	v_addc_co_u32_e32 v12, vcc, 0, v8, vcc
	v_mad_u64_u32 v[7:8], s[0:1], v6, v4, 0
	v_mad_u64_u32 v[9:10], s[0:1], v6, v9, 0
	v_add_co_u32_e32 v4, vcc, v11, v7
	v_addc_co_u32_e32 v4, vcc, v12, v8, vcc
	v_addc_co_u32_e32 v7, vcc, 0, v10, vcc
	v_add_co_u32_e32 v4, vcc, v4, v9
	v_addc_co_u32_e32 v9, vcc, 0, v7, vcc
	v_mul_lo_u32 v10, s19, v4
	v_mul_lo_u32 v11, s18, v9
	v_mad_u64_u32 v[7:8], s[0:1], s18, v4, 0
	v_add3_u32 v8, v8, v11, v10
	v_sub_u32_e32 v10, v6, v8
	v_mov_b32_e32 v11, s19
	v_sub_co_u32_e32 v7, vcc, v5, v7
	v_subb_co_u32_e64 v10, s[0:1], v10, v11, vcc
	v_subrev_co_u32_e64 v11, s[0:1], s18, v7
	v_subbrev_co_u32_e64 v10, s[0:1], 0, v10, s[0:1]
	v_cmp_le_u32_e64 s[0:1], s19, v10
	v_cndmask_b32_e64 v12, 0, -1, s[0:1]
	v_cmp_le_u32_e64 s[0:1], s18, v11
	v_cndmask_b32_e64 v11, 0, -1, s[0:1]
	v_cmp_eq_u32_e64 s[0:1], s19, v10
	v_cndmask_b32_e64 v10, v12, v11, s[0:1]
	v_add_co_u32_e64 v11, s[0:1], 2, v4
	v_addc_co_u32_e64 v12, s[0:1], 0, v9, s[0:1]
	v_add_co_u32_e64 v13, s[0:1], 1, v4
	v_addc_co_u32_e64 v14, s[0:1], 0, v9, s[0:1]
	v_subb_co_u32_e32 v8, vcc, v6, v8, vcc
	v_cmp_ne_u32_e64 s[0:1], 0, v10
	v_cmp_le_u32_e32 vcc, s19, v8
	v_cndmask_b32_e64 v10, v14, v12, s[0:1]
	v_cndmask_b32_e64 v12, 0, -1, vcc
	v_cmp_le_u32_e32 vcc, s18, v7
	v_cndmask_b32_e64 v7, 0, -1, vcc
	v_cmp_eq_u32_e32 vcc, s19, v8
	v_cndmask_b32_e32 v7, v12, v7, vcc
	v_cmp_ne_u32_e32 vcc, 0, v7
	v_cndmask_b32_e64 v7, v13, v11, s[0:1]
	v_cndmask_b32_e32 v8, v9, v10, vcc
	v_cndmask_b32_e32 v7, v4, v7, vcc
.LBB0_4:                                ;   in Loop: Header=BB0_2 Depth=1
	s_andn2_saveexec_b64 s[0:1], s[20:21]
	s_cbranch_execz .LBB0_6
; %bb.5:                                ;   in Loop: Header=BB0_2 Depth=1
	v_cvt_f32_u32_e32 v4, s18
	s_sub_i32 s20, 0, s18
	v_rcp_iflag_f32_e32 v4, v4
	v_mul_f32_e32 v4, 0x4f7ffffe, v4
	v_cvt_u32_f32_e32 v4, v4
	v_mul_lo_u32 v7, s20, v4
	v_mul_hi_u32 v7, v4, v7
	v_add_u32_e32 v4, v4, v7
	v_mul_hi_u32 v4, v5, v4
	v_mul_lo_u32 v7, v4, s18
	v_add_u32_e32 v8, 1, v4
	v_sub_u32_e32 v7, v5, v7
	v_subrev_u32_e32 v9, s18, v7
	v_cmp_le_u32_e32 vcc, s18, v7
	v_cndmask_b32_e32 v7, v7, v9, vcc
	v_cndmask_b32_e32 v4, v4, v8, vcc
	v_add_u32_e32 v8, 1, v4
	v_cmp_le_u32_e32 vcc, s18, v7
	v_cndmask_b32_e32 v7, v4, v8, vcc
	v_mov_b32_e32 v8, v3
.LBB0_6:                                ;   in Loop: Header=BB0_2 Depth=1
	s_or_b64 exec, exec, s[0:1]
	v_mul_lo_u32 v4, v8, s18
	v_mul_lo_u32 v11, v7, s19
	v_mad_u64_u32 v[9:10], s[0:1], v7, s18, 0
	s_load_dwordx2 s[0:1], s[6:7], 0x0
	s_add_u32 s16, s16, 1
	v_add3_u32 v4, v10, v11, v4
	v_sub_co_u32_e32 v5, vcc, v5, v9
	v_subb_co_u32_e32 v4, vcc, v6, v4, vcc
	s_waitcnt lgkmcnt(0)
	v_mul_lo_u32 v4, s0, v4
	v_mul_lo_u32 v6, s1, v5
	v_mad_u64_u32 v[1:2], s[0:1], s0, v5, v[1:2]
	s_addc_u32 s17, s17, 0
	s_add_u32 s6, s6, 8
	v_add3_u32 v2, v6, v2, v4
	v_mov_b32_e32 v4, s10
	v_mov_b32_e32 v5, s11
	s_addc_u32 s7, s7, 0
	v_cmp_ge_u64_e32 vcc, s[16:17], v[4:5]
	s_add_u32 s14, s14, 8
	s_addc_u32 s15, s15, 0
	s_cbranch_vccnz .LBB0_9
; %bb.7:                                ;   in Loop: Header=BB0_2 Depth=1
	v_mov_b32_e32 v5, v7
	v_mov_b32_e32 v6, v8
	s_branch .LBB0_2
.LBB0_8:
	v_mov_b32_e32 v8, v6
	v_mov_b32_e32 v7, v5
.LBB0_9:
	s_lshl_b64 s[0:1], s[10:11], 3
	s_add_u32 s0, s2, s0
	s_addc_u32 s1, s3, s1
	s_load_dwordx2 s[2:3], s[0:1], 0x0
	s_load_dwordx2 s[6:7], s[4:5], 0x20
                                        ; implicit-def: $vgpr52
                                        ; implicit-def: $vgpr55
                                        ; implicit-def: $vgpr54
	s_waitcnt lgkmcnt(0)
	v_mad_u64_u32 v[1:2], s[0:1], s2, v7, v[1:2]
	s_mov_b32 s0, 0x1f07c20
	v_mul_lo_u32 v3, s2, v8
	v_mul_lo_u32 v4, s3, v7
	v_mul_hi_u32 v5, v0, s0
	v_cmp_gt_u64_e64 s[0:1], s[6:7], v[7:8]
	v_cmp_le_u64_e32 vcc, s[6:7], v[7:8]
	v_add3_u32 v2, v4, v2, v3
	v_mul_u32_u24_e32 v3, 0x84, v5
	v_sub_u32_e32 v48, v0, v3
	s_and_saveexec_b64 s[2:3], vcc
	s_xor_b64 s[2:3], exec, s[2:3]
; %bb.10:
	v_add_u32_e32 v52, 0x84, v48
	v_add_u32_e32 v55, 0x108, v48
	;; [unrolled: 1-line block ×3, first 2 shown]
; %bb.11:
	s_or_saveexec_b64 s[2:3], s[2:3]
	v_lshlrev_b64 v[50:51], 4, v[1:2]
	v_lshl_add_u32 v58, v48, 4, 0
	s_xor_b64 exec, exec, s[2:3]
	s_cbranch_execz .LBB0_13
; %bb.12:
	v_mov_b32_e32 v49, 0
	v_mov_b32_e32 v0, s13
	v_add_co_u32_e32 v2, vcc, s12, v50
	v_addc_co_u32_e32 v3, vcc, v0, v51, vcc
	v_lshlrev_b64 v[0:1], 4, v[48:49]
	s_movk_i32 s4, 0x1000
	v_add_co_u32_e32 v32, vcc, v2, v0
	v_addc_co_u32_e32 v33, vcc, v3, v1, vcc
	v_add_co_u32_e32 v16, vcc, s4, v32
	v_addc_co_u32_e32 v17, vcc, 0, v33, vcc
	s_movk_i32 s4, 0x2000
	v_add_co_u32_e32 v24, vcc, s4, v32
	v_addc_co_u32_e32 v25, vcc, 0, v33, vcc
	s_movk_i32 s4, 0x3000
	v_add_co_u32_e32 v34, vcc, s4, v32
	v_addc_co_u32_e32 v35, vcc, 0, v33, vcc
	v_add_co_u32_e32 v44, vcc, 0x4000, v32
	v_addc_co_u32_e32 v45, vcc, 0, v33, vcc
	v_add_co_u32_e32 v46, vcc, 0x5000, v32
	global_load_dwordx4 v[0:3], v[32:33], off
	global_load_dwordx4 v[4:7], v[32:33], off offset:2112
	global_load_dwordx4 v[8:11], v[16:17], off offset:128
	;; [unrolled: 1-line block ×3, first 2 shown]
	s_nop 0
	global_load_dwordx4 v[16:19], v[24:25], off offset:256
	global_load_dwordx4 v[20:23], v[24:25], off offset:2368
	s_nop 0
	global_load_dwordx4 v[24:27], v[34:35], off offset:384
	global_load_dwordx4 v[28:31], v[34:35], off offset:2496
	v_addc_co_u32_e32 v47, vcc, 0, v33, vcc
	global_load_dwordx4 v[32:35], v[44:45], off offset:512
	global_load_dwordx4 v[36:39], v[44:45], off offset:2624
	;; [unrolled: 1-line block ×3, first 2 shown]
	v_add_u32_e32 v52, 0x84, v48
	v_add_u32_e32 v55, 0x108, v48
	;; [unrolled: 1-line block ×3, first 2 shown]
	s_waitcnt vmcnt(10)
	ds_write_b128 v58, v[0:3]
	s_waitcnt vmcnt(9)
	ds_write_b128 v58, v[4:7] offset:2112
	s_waitcnt vmcnt(8)
	ds_write_b128 v58, v[8:11] offset:4224
	;; [unrolled: 2-line block ×10, first 2 shown]
.LBB0_13:
	s_or_b64 exec, exec, s[2:3]
	s_waitcnt lgkmcnt(0)
	s_barrier
	ds_read_b128 v[0:3], v58
	ds_read_b128 v[4:7], v58 offset:2112
	ds_read_b128 v[12:15], v58 offset:4224
	;; [unrolled: 1-line block ×10, first 2 shown]
	s_mov_b32 s20, 0xf8bb580b
	s_mov_b32 s16, 0x8764f0ba
	s_waitcnt lgkmcnt(9)
	v_add_f64 v[8:9], v[0:1], v[4:5]
	v_add_f64 v[10:11], v[2:3], v[6:7]
	s_waitcnt lgkmcnt(4)
	v_add_f64 v[61:62], v[26:27], v[30:31]
	v_add_f64 v[63:64], v[26:27], -v[30:31]
	s_waitcnt lgkmcnt(3)
	v_add_f64 v[65:66], v[20:21], -v[32:33]
	v_add_f64 v[67:68], v[22:23], -v[34:35]
	s_waitcnt lgkmcnt(2)
	v_add_f64 v[69:70], v[16:17], v[36:37]
	v_add_f64 v[71:72], v[18:19], v[38:39]
	;; [unrolled: 1-line block ×4, first 2 shown]
	s_waitcnt lgkmcnt(1)
	v_add_f64 v[73:74], v[12:13], v[40:41]
	v_add_f64 v[77:78], v[12:13], -v[40:41]
	s_mov_b32 s6, 0x8eee2c13
	s_mov_b32 s2, 0x43842ef
	;; [unrolled: 1-line block ×4, first 2 shown]
	v_add_f64 v[8:9], v[8:9], v[16:17]
	v_add_f64 v[10:11], v[10:11], v[18:19]
	s_mov_b32 s21, 0xbfe14ced
	s_mov_b32 s17, 0x3feaeb8c
	;; [unrolled: 1-line block ×6, first 2 shown]
	v_add_f64 v[8:9], v[8:9], v[20:21]
	v_add_f64 v[10:11], v[10:11], v[22:23]
	v_add_f64 v[75:76], v[14:15], v[42:43]
	s_mov_b32 s10, 0xd9c712b6
	s_mov_b32 s4, 0x640f44db
	;; [unrolled: 1-line block ×5, first 2 shown]
	v_add_f64 v[56:57], v[8:9], v[24:25]
	v_add_f64 v[59:60], v[10:11], v[26:27]
	;; [unrolled: 1-line block ×3, first 2 shown]
	v_add_f64 v[10:11], v[24:25], -v[28:29]
	s_mov_b32 s5, 0xbfc2375f
	s_mov_b32 s25, 0xbfe4f49e
	;; [unrolled: 1-line block ×4, first 2 shown]
	v_add_f64 v[24:25], v[56:57], v[28:29]
	v_add_f64 v[26:27], v[59:60], v[30:31]
	v_add_f64 v[56:57], v[20:21], v[32:33]
	v_add_f64 v[59:60], v[22:23], v[34:35]
	s_mov_b32 s28, s20
	s_mov_b32 s23, 0x3fed1bb4
	;; [unrolled: 1-line block ×4, first 2 shown]
	v_add_f64 v[20:21], v[24:25], v[32:33]
	v_add_f64 v[22:23], v[26:27], v[34:35]
	v_add_f64 v[32:33], v[16:17], -v[36:37]
	v_add_f64 v[34:35], v[18:19], -v[38:39]
	s_waitcnt lgkmcnt(0)
	v_add_f64 v[16:17], v[6:7], -v[46:47]
	v_add_f64 v[6:7], v[6:7], v[46:47]
	s_mov_b32 s26, s2
	s_mov_b32 s31, 0x3fe82f19
	v_add_f64 v[12:13], v[20:21], v[36:37]
	v_add_f64 v[18:19], v[22:23], v[38:39]
	v_add_f64 v[36:37], v[14:15], -v[42:43]
	v_add_f64 v[20:21], v[4:5], v[44:45]
	v_mul_f64 v[14:15], v[16:17], s[20:21]
	v_mul_f64 v[22:23], v[16:17], s[6:7]
	v_add_f64 v[4:5], v[4:5], -v[44:45]
	v_mul_f64 v[24:25], v[16:17], s[2:3]
	v_add_f64 v[12:13], v[12:13], v[40:41]
	v_add_f64 v[18:19], v[18:19], v[42:43]
	v_mul_f64 v[26:27], v[16:17], s[14:15]
	v_mul_f64 v[16:17], v[16:17], s[18:19]
	;; [unrolled: 1-line block ×3, first 2 shown]
	v_fma_f64 v[28:29], v[20:21], s[16:17], v[14:15]
	v_fma_f64 v[30:31], v[20:21], s[16:17], -v[14:15]
	v_fma_f64 v[38:39], v[20:21], s[10:11], v[22:23]
	v_fma_f64 v[22:23], v[20:21], s[10:11], -v[22:23]
	v_add_f64 v[12:13], v[12:13], v[44:45]
	v_add_f64 v[14:15], v[18:19], v[46:47]
	v_fma_f64 v[18:19], v[20:21], s[4:5], v[24:25]
	v_fma_f64 v[24:25], v[20:21], s[4:5], -v[24:25]
	v_fma_f64 v[40:41], v[20:21], s[24:25], v[26:27]
	v_fma_f64 v[26:27], v[20:21], s[24:25], -v[26:27]
	;; [unrolled: 2-line block ×3, first 2 shown]
	v_mul_f64 v[20:21], v[6:7], s[10:11]
	v_fma_f64 v[46:47], v[4:5], s[28:29], v[42:43]
	v_mul_f64 v[79:80], v[6:7], s[4:5]
	v_mul_f64 v[83:84], v[6:7], s[24:25]
	;; [unrolled: 1-line block ×3, first 2 shown]
	s_mov_b32 s30, s14
	s_mov_b32 s37, 0x3fd207e7
	;; [unrolled: 1-line block ×3, first 2 shown]
	v_fma_f64 v[42:43], v[4:5], s[20:21], v[42:43]
	v_fma_f64 v[81:82], v[4:5], s[22:23], v[20:21]
	;; [unrolled: 1-line block ×9, first 2 shown]
	v_add_f64 v[6:7], v[0:1], v[28:29]
	v_add_f64 v[28:29], v[2:3], v[46:47]
	v_mul_f64 v[46:47], v[36:37], s[6:7]
	v_add_f64 v[91:92], v[0:1], v[18:19]
	v_mul_f64 v[18:19], v[75:76], s[10:11]
	v_mul_f64 v[95:96], v[34:35], s[2:3]
	v_mul_f64 v[99:100], v[71:72], s[4:5]
	v_mul_f64 v[101:102], v[67:68], s[14:15]
	v_add_f64 v[103:104], v[0:1], v[26:27]
	v_mul_f64 v[105:106], v[63:64], s[18:19]
	v_fma_f64 v[93:94], v[73:74], s[10:11], v[46:47]
	v_add_f64 v[30:31], v[0:1], v[30:31]
	v_fma_f64 v[97:98], v[77:78], s[22:23], v[18:19]
	v_add_f64 v[42:43], v[2:3], v[42:43]
	v_add_f64 v[38:39], v[0:1], v[38:39]
	;; [unrolled: 1-line block ×6, first 2 shown]
	v_fma_f64 v[93:94], v[69:70], s[4:5], v[95:96]
	v_add_f64 v[26:27], v[97:98], v[28:29]
	v_fma_f64 v[28:29], v[32:33], s[26:27], v[99:100]
	v_mul_f64 v[97:98], v[59:60], s[24:25]
	v_add_f64 v[85:86], v[2:3], v[85:86]
	v_add_f64 v[24:25], v[0:1], v[24:25]
	;; [unrolled: 1-line block ×5, first 2 shown]
	v_fma_f64 v[93:94], v[56:57], s[24:25], v[101:102]
	v_add_f64 v[87:88], v[2:3], v[87:88]
	v_add_f64 v[83:84], v[2:3], v[83:84]
	;; [unrolled: 1-line block ×5, first 2 shown]
	v_fma_f64 v[0:1], v[73:74], s[10:11], -v[46:47]
	v_add_f64 v[16:17], v[28:29], v[26:27]
	v_fma_f64 v[26:27], v[65:66], s[30:31], v[97:98]
	v_mul_f64 v[28:29], v[61:62], s[34:35]
	v_add_f64 v[6:7], v[93:94], v[6:7]
	v_fma_f64 v[46:47], v[8:9], s[34:35], v[105:106]
	v_add_f64 v[93:94], v[2:3], v[4:5]
	v_fma_f64 v[2:3], v[77:78], s[6:7], v[18:19]
	v_add_f64 v[0:1], v[0:1], v[30:31]
	v_fma_f64 v[4:5], v[69:70], s[4:5], -v[95:96]
	v_add_f64 v[18:19], v[26:27], v[16:17]
	v_fma_f64 v[26:27], v[10:11], s[36:37], v[28:29]
	v_mul_f64 v[30:31], v[36:37], s[14:15]
	v_add_f64 v[16:17], v[46:47], v[6:7]
	v_mul_f64 v[6:7], v[75:76], s[24:25]
	v_add_f64 v[2:3], v[2:3], v[42:43]
	v_fma_f64 v[42:43], v[32:33], s[2:3], v[99:100]
	v_add_f64 v[0:1], v[4:5], v[0:1]
	v_fma_f64 v[4:5], v[56:57], s[24:25], -v[101:102]
	v_add_f64 v[18:19], v[26:27], v[18:19]
	v_fma_f64 v[26:27], v[73:74], s[24:25], v[30:31]
	v_mul_f64 v[46:47], v[34:35], s[36:37]
	v_fma_f64 v[95:96], v[77:78], s[30:31], v[6:7]
	v_mul_f64 v[99:100], v[71:72], s[34:35]
	v_add_f64 v[2:3], v[42:43], v[2:3]
	v_fma_f64 v[42:43], v[65:66], s[14:15], v[97:98]
	v_add_f64 v[0:1], v[4:5], v[0:1]
	v_fma_f64 v[4:5], v[8:9], s[34:35], -v[105:106]
	v_add_f64 v[26:27], v[26:27], v[38:39]
	v_fma_f64 v[38:39], v[69:70], s[34:35], v[46:47]
	v_add_f64 v[81:82], v[95:96], v[81:82]
	v_fma_f64 v[95:96], v[32:33], s[18:19], v[99:100]
	v_mul_f64 v[97:98], v[67:68], s[26:27]
	v_add_f64 v[2:3], v[42:43], v[2:3]
	v_mul_f64 v[42:43], v[59:60], s[4:5]
	v_fma_f64 v[28:29], v[10:11], s[18:19], v[28:29]
	v_add_f64 v[0:1], v[4:5], v[0:1]
	v_add_f64 v[4:5], v[38:39], v[26:27]
	v_fma_f64 v[26:27], v[73:74], s[24:25], -v[30:31]
	v_add_f64 v[30:31], v[95:96], v[81:82]
	v_fma_f64 v[38:39], v[56:57], s[4:5], v[97:98]
	v_mul_f64 v[81:82], v[63:64], s[28:29]
	v_fma_f64 v[95:96], v[65:66], s[2:3], v[42:43]
	v_fma_f64 v[6:7], v[77:78], s[14:15], v[6:7]
	v_add_f64 v[2:3], v[28:29], v[2:3]
	v_mul_f64 v[28:29], v[61:62], s[16:17]
	v_add_f64 v[22:23], v[26:27], v[22:23]
	v_fma_f64 v[26:27], v[69:70], s[34:35], -v[46:47]
	v_add_f64 v[4:5], v[38:39], v[4:5]
	v_fma_f64 v[38:39], v[8:9], s[16:17], v[81:82]
	v_add_f64 v[30:31], v[95:96], v[30:31]
	v_mul_f64 v[46:47], v[36:37], s[36:37]
	v_add_f64 v[6:7], v[6:7], v[20:21]
	v_fma_f64 v[95:96], v[32:33], s[36:37], v[99:100]
	v_fma_f64 v[99:100], v[10:11], s[20:21], v[28:29]
	v_add_f64 v[26:27], v[26:27], v[22:23]
	v_fma_f64 v[97:98], v[56:57], s[4:5], -v[97:98]
	v_add_f64 v[20:21], v[38:39], v[4:5]
	v_mul_f64 v[38:39], v[75:76], s[34:35]
	v_fma_f64 v[4:5], v[73:74], s[34:35], v[46:47]
	v_mul_f64 v[101:102], v[34:35], s[22:23]
	v_add_f64 v[6:7], v[95:96], v[6:7]
	v_fma_f64 v[42:43], v[65:66], s[26:27], v[42:43]
	v_add_f64 v[22:23], v[99:100], v[30:31]
	v_add_f64 v[26:27], v[97:98], v[26:27]
	v_fma_f64 v[30:31], v[8:9], s[16:17], -v[81:82]
	v_fma_f64 v[81:82], v[77:78], s[18:19], v[38:39]
	v_add_f64 v[91:92], v[4:5], v[91:92]
	v_fma_f64 v[95:96], v[69:70], s[10:11], v[101:102]
	v_mul_f64 v[97:98], v[71:72], s[10:11]
	v_add_f64 v[6:7], v[42:43], v[6:7]
	v_mul_f64 v[42:43], v[67:68], s[20:21]
	v_fma_f64 v[28:29], v[10:11], s[28:29], v[28:29]
	v_add_f64 v[4:5], v[30:31], v[26:27]
	v_add_f64 v[26:27], v[81:82], v[85:86]
	v_fma_f64 v[30:31], v[73:74], s[34:35], -v[46:47]
	v_add_f64 v[46:47], v[95:96], v[91:92]
	v_fma_f64 v[81:82], v[32:33], s[6:7], v[97:98]
	v_mul_f64 v[85:86], v[59:60], s[16:17]
	v_fma_f64 v[91:92], v[56:57], s[16:17], v[42:43]
	v_mul_f64 v[95:96], v[63:64], s[14:15]
	v_add_f64 v[6:7], v[28:29], v[6:7]
	v_fma_f64 v[28:29], v[77:78], s[36:37], v[38:39]
	v_add_f64 v[24:25], v[30:31], v[24:25]
	v_fma_f64 v[30:31], v[69:70], s[10:11], -v[101:102]
	v_add_f64 v[26:27], v[81:82], v[26:27]
	v_fma_f64 v[38:39], v[65:66], s[28:29], v[85:86]
	v_add_f64 v[46:47], v[91:92], v[46:47]
	v_fma_f64 v[81:82], v[8:9], s[24:25], v[95:96]
	v_mul_f64 v[91:92], v[61:62], s[24:25]
	v_add_f64 v[28:29], v[28:29], v[79:80]
	v_fma_f64 v[79:80], v[32:33], s[22:23], v[97:98]
	v_add_f64 v[30:31], v[30:31], v[24:25]
	v_fma_f64 v[42:43], v[56:57], s[16:17], -v[42:43]
	v_add_f64 v[26:27], v[38:39], v[26:27]
	v_mul_f64 v[38:39], v[36:37], s[26:27]
	v_add_f64 v[24:25], v[81:82], v[46:47]
	v_mul_f64 v[46:47], v[75:76], s[4:5]
	v_fma_f64 v[81:82], v[10:11], s[30:31], v[91:92]
	v_add_f64 v[28:29], v[79:80], v[28:29]
	v_fma_f64 v[79:80], v[65:66], s[20:21], v[85:86]
	v_add_f64 v[30:31], v[42:43], v[30:31]
	v_fma_f64 v[42:43], v[8:9], s[24:25], -v[95:96]
	v_fma_f64 v[85:86], v[73:74], s[4:5], v[38:39]
	v_mul_f64 v[95:96], v[34:35], s[20:21]
	v_fma_f64 v[97:98], v[77:78], s[2:3], v[46:47]
	v_mul_f64 v[99:100], v[71:72], s[16:17]
	v_add_f64 v[26:27], v[81:82], v[26:27]
	v_add_f64 v[79:80], v[79:80], v[28:29]
	v_fma_f64 v[81:82], v[10:11], s[14:15], v[91:92]
	v_add_f64 v[28:29], v[42:43], v[30:31]
	v_add_f64 v[40:41], v[85:86], v[40:41]
	v_fma_f64 v[42:43], v[69:70], s[16:17], v[95:96]
	v_add_f64 v[85:86], v[97:98], v[87:88]
	v_fma_f64 v[87:88], v[32:33], s[28:29], v[99:100]
	v_mul_f64 v[91:92], v[67:68], s[18:19]
	v_mul_f64 v[97:98], v[59:60], s[34:35]
	v_fma_f64 v[38:39], v[73:74], s[4:5], -v[38:39]
	v_add_f64 v[30:31], v[81:82], v[79:80]
	v_fma_f64 v[46:47], v[77:78], s[26:27], v[46:47]
	v_add_f64 v[40:41], v[42:43], v[40:41]
	v_mul_f64 v[36:37], v[36:37], s[28:29]
	v_add_f64 v[42:43], v[87:88], v[85:86]
	v_fma_f64 v[79:80], v[56:57], s[34:35], v[91:92]
	v_fma_f64 v[81:82], v[65:66], s[36:37], v[97:98]
	v_add_f64 v[38:39], v[38:39], v[103:104]
	v_fma_f64 v[85:86], v[69:70], s[16:17], -v[95:96]
	v_mul_f64 v[75:76], v[75:76], s[16:17]
	v_add_f64 v[46:47], v[46:47], v[83:84]
	v_fma_f64 v[83:84], v[32:33], s[20:21], v[99:100]
	v_fma_f64 v[87:88], v[73:74], s[16:17], v[36:37]
	v_mul_f64 v[34:35], v[34:35], s[14:15]
	v_add_f64 v[40:41], v[79:80], v[40:41]
	v_add_f64 v[42:43], v[81:82], v[42:43]
	;; [unrolled: 1-line block ×3, first 2 shown]
	v_fma_f64 v[79:80], v[56:57], s[34:35], -v[91:92]
	v_fma_f64 v[81:82], v[77:78], s[20:21], v[75:76]
	v_mul_f64 v[71:72], v[71:72], s[24:25]
	v_fma_f64 v[36:37], v[73:74], s[16:17], -v[36:37]
	v_fma_f64 v[75:76], v[77:78], s[28:29], v[75:76]
	v_add_f64 v[46:47], v[83:84], v[46:47]
	v_fma_f64 v[83:84], v[69:70], s[24:25], v[34:35]
	v_fma_f64 v[73:74], v[65:66], s[18:19], v[97:98]
	v_add_f64 v[38:39], v[79:80], v[38:39]
	v_add_f64 v[77:78], v[81:82], v[89:90]
	v_fma_f64 v[79:80], v[32:33], s[30:31], v[71:72]
	v_add_f64 v[36:37], v[36:37], v[107:108]
	v_fma_f64 v[34:35], v[69:70], s[24:25], -v[34:35]
	v_mul_f64 v[59:60], v[59:60], s[10:11]
	v_add_f64 v[44:45], v[87:88], v[44:45]
	v_mul_f64 v[67:68], v[67:68], s[22:23]
	v_add_f64 v[69:70], v[75:76], v[93:94]
	v_fma_f64 v[32:33], v[32:33], s[14:15], v[71:72]
	v_add_f64 v[46:47], v[73:74], v[46:47]
	v_add_f64 v[71:72], v[79:80], v[77:78]
	v_mul_f64 v[73:74], v[63:64], s[22:23]
	v_add_f64 v[34:35], v[34:35], v[36:37]
	v_fma_f64 v[36:37], v[65:66], s[6:7], v[59:60]
	v_mul_f64 v[75:76], v[61:62], s[10:11]
	v_add_f64 v[44:45], v[83:84], v[44:45]
	v_fma_f64 v[81:82], v[56:57], s[10:11], v[67:68]
	v_mul_f64 v[63:64], v[63:64], s[2:3]
	v_mul_f64 v[61:62], v[61:62], s[4:5]
	v_add_f64 v[32:33], v[32:33], v[69:70]
	v_fma_f64 v[56:57], v[56:57], s[10:11], -v[67:68]
	v_fma_f64 v[59:60], v[65:66], s[22:23], v[59:60]
	v_fma_f64 v[65:66], v[8:9], s[10:11], v[73:74]
	v_add_f64 v[67:68], v[36:37], v[71:72]
	v_fma_f64 v[36:37], v[10:11], s[6:7], v[75:76]
	v_add_f64 v[44:45], v[81:82], v[44:45]
	v_fma_f64 v[69:70], v[8:9], s[10:11], -v[73:74]
	v_fma_f64 v[71:72], v[10:11], s[22:23], v[75:76]
	v_fma_f64 v[73:74], v[8:9], s[4:5], v[63:64]
	;; [unrolled: 1-line block ×3, first 2 shown]
	v_add_f64 v[56:57], v[56:57], v[34:35]
	v_add_f64 v[59:60], v[59:60], v[32:33]
	v_fma_f64 v[63:64], v[8:9], s[4:5], -v[63:64]
	v_fma_f64 v[61:62], v[10:11], s[2:3], v[61:62]
	v_add_f64 v[8:9], v[65:66], v[40:41]
	v_add_f64 v[10:11], v[36:37], v[42:43]
	;; [unrolled: 1-line block ×5, first 2 shown]
	s_movk_i32 s2, 0xa0
	v_add_f64 v[40:41], v[63:64], v[56:57]
	v_add_f64 v[42:43], v[61:62], v[59:60]
	;; [unrolled: 1-line block ×3, first 2 shown]
	v_mad_u32_u24 v44, v48, s2, v58
	s_barrier
	ds_write_b128 v44, v[12:15]
	ds_write_b128 v44, v[16:19] offset:16
	ds_write_b128 v44, v[20:23] offset:32
	;; [unrolled: 1-line block ×10, first 2 shown]
	s_waitcnt lgkmcnt(0)
	s_barrier
	v_lshl_add_u32 v61, v52, 4, 0
	v_lshl_add_u32 v60, v55, 4, 0
	ds_read_b128 v[8:11], v58
	ds_read_b128 v[24:27], v58 offset:7744
	ds_read_b128 v[20:23], v58 offset:15488
	;; [unrolled: 1-line block ×3, first 2 shown]
	ds_read_b128 v[16:19], v61
	ds_read_b128 v[12:15], v60
	ds_read_b128 v[40:43], v58 offset:9856
	ds_read_b128 v[36:39], v58 offset:11968
	;; [unrolled: 1-line block ×3, first 2 shown]
	s_movk_i32 s2, 0x58
	v_cmp_gt_u32_e32 vcc, s2, v48
	v_lshl_add_u32 v59, v54, 4, 0
                                        ; implicit-def: $vgpr46_vgpr47
	s_and_saveexec_b64 s[2:3], vcc
	s_cbranch_execz .LBB0_15
; %bb.14:
	ds_read_b128 v[4:7], v59
	ds_read_b128 v[0:3], v58 offset:14080
	ds_read_b128 v[44:47], v58 offset:21824
.LBB0_15:
	s_or_b64 exec, exec, s[2:3]
	s_movk_i32 s2, 0x75
	v_mul_lo_u16_sdwa v49, v48, s2 dst_sel:DWORD dst_unused:UNUSED_PAD src0_sel:BYTE_0 src1_sel:DWORD
	v_sub_u16_sdwa v53, v48, v49 dst_sel:DWORD dst_unused:UNUSED_PAD src0_sel:DWORD src1_sel:BYTE_1
	v_lshrrev_b16_e32 v53, 1, v53
	v_and_b32_e32 v53, 0x7f, v53
	s_mov_b32 s2, 0xba2f
	v_add_u16_sdwa v49, v53, v49 dst_sel:DWORD dst_unused:UNUSED_PAD src0_sel:DWORD src1_sel:BYTE_1
	v_mul_u32_u24_sdwa v53, v52, s2 dst_sel:DWORD dst_unused:UNUSED_PAD src0_sel:WORD_0 src1_sel:DWORD
	v_lshrrev_b32_e32 v108, 19, v53
	v_mul_lo_u16_e32 v53, 11, v108
	v_sub_u16_e32 v109, v52, v53
	v_lshlrev_b32_e32 v53, 5, v109
	global_load_dwordx4 v[62:65], v53, s[8:9] offset:16
	global_load_dwordx4 v[66:69], v53, s[8:9]
	v_mul_u32_u24_sdwa v53, v55, s2 dst_sel:DWORD dst_unused:UNUSED_PAD src0_sel:WORD_0 src1_sel:DWORD
	v_lshrrev_b32_e32 v110, 19, v53
	v_mul_lo_u16_e32 v53, 11, v110
	v_sub_u16_e32 v111, v55, v53
	v_lshlrev_b32_e32 v53, 5, v111
	global_load_dwordx4 v[70:73], v53, s[8:9] offset:16
	global_load_dwordx4 v[74:77], v53, s[8:9]
	v_mul_u32_u24_sdwa v53, v54, s2 dst_sel:DWORD dst_unused:UNUSED_PAD src0_sel:WORD_0 src1_sel:DWORD
	v_lshrrev_b16_e32 v57, 3, v49
	v_lshrrev_b32_e32 v53, 19, v53
	v_mul_lo_u16_e32 v49, 11, v57
	v_mul_lo_u16_e32 v56, 11, v53
	v_sub_u16_e32 v56, v54, v56
	v_sub_u16_e32 v94, v48, v49
	v_mov_b32_e32 v49, 5
	v_lshlrev_b32_e32 v86, 5, v56
	v_lshlrev_b32_sdwa v49, v49, v94 dst_sel:DWORD dst_unused:UNUSED_PAD src0_sel:DWORD src1_sel:BYTE_0
	global_load_dwordx4 v[78:81], v86, s[8:9] offset:16
	global_load_dwordx4 v[82:85], v86, s[8:9]
	s_nop 0
	global_load_dwordx4 v[86:89], v49, s[8:9]
	global_load_dwordx4 v[90:93], v49, s[8:9] offset:16
	v_mov_b32_e32 v49, 4
	v_mul_u32_u24_e32 v57, 0x210, v57
	v_lshlrev_b32_sdwa v94, v49, v94 dst_sel:DWORD dst_unused:UNUSED_PAD src0_sel:DWORD src1_sel:BYTE_0
	v_add3_u32 v57, 0, v57, v94
	s_mov_b32 s4, 0xe8584caa
	s_mov_b32 s5, 0xbfebb67a
	;; [unrolled: 1-line block ×4, first 2 shown]
	s_waitcnt vmcnt(0) lgkmcnt(0)
	s_barrier
	v_mul_f64 v[96:97], v[30:31], v[64:65]
	v_mul_f64 v[94:95], v[42:43], v[68:69]
	;; [unrolled: 1-line block ×7, first 2 shown]
	v_fma_f64 v[40:41], v[40:41], v[66:67], v[94:95]
	v_fma_f64 v[42:43], v[42:43], v[66:67], -v[68:69]
	v_mul_f64 v[76:77], v[36:37], v[76:77]
	v_fma_f64 v[36:37], v[36:37], v[74:75], v[98:99]
	v_mul_f64 v[104:105], v[46:47], v[80:81]
	v_mul_f64 v[102:103], v[2:3], v[84:85]
	v_mul_f64 v[84:85], v[0:1], v[84:85]
	v_mul_f64 v[80:81], v[44:45], v[80:81]
	v_mul_f64 v[106:107], v[26:27], v[88:89]
	v_mul_f64 v[88:89], v[24:25], v[88:89]
	v_mul_f64 v[66:67], v[22:23], v[92:93]
	v_mul_f64 v[68:69], v[20:21], v[92:93]
	v_fma_f64 v[92:93], v[28:29], v[62:63], v[96:97]
	v_fma_f64 v[62:63], v[30:31], v[62:63], -v[64:65]
	v_fma_f64 v[64:65], v[32:33], v[70:71], v[100:101]
	v_fma_f64 v[70:71], v[34:35], v[70:71], -v[72:73]
	;; [unrolled: 2-line block ×6, first 2 shown]
	v_fma_f64 v[38:39], v[38:39], v[74:75], -v[76:77]
	v_add_f64 v[24:25], v[16:17], v[40:41]
	v_add_f64 v[26:27], v[40:41], v[92:93]
	v_add_f64 v[72:73], v[40:41], -v[92:93]
	v_add_f64 v[40:41], v[12:13], v[36:37]
	v_add_f64 v[90:91], v[10:11], v[2:3]
	;; [unrolled: 1-line block ×3, first 2 shown]
	v_add_f64 v[88:89], v[2:3], -v[46:47]
	v_add_f64 v[2:3], v[2:3], v[46:47]
	v_add_f64 v[66:67], v[42:43], -v[62:63]
	v_add_f64 v[68:69], v[18:19], v[42:43]
	v_add_f64 v[42:43], v[42:43], v[62:63]
	;; [unrolled: 1-line block ×3, first 2 shown]
	v_add_f64 v[76:77], v[38:39], -v[70:71]
	v_add_f64 v[78:79], v[14:15], v[38:39]
	v_add_f64 v[38:39], v[38:39], v[70:71]
	v_add_f64 v[80:81], v[36:37], -v[64:65]
	v_add_f64 v[36:37], v[30:31], v[28:29]
	v_add_f64 v[82:83], v[34:35], v[32:33]
	v_add_f64 v[84:85], v[8:9], v[0:1]
	v_add_f64 v[0:1], v[0:1], -v[44:45]
	v_add_f64 v[24:25], v[24:25], v[92:93]
	v_fma_f64 v[92:93], v[26:27], -0.5, v[16:17]
	v_add_f64 v[16:17], v[40:41], v[64:65]
	v_fma_f64 v[64:65], v[86:87], -0.5, v[8:9]
	v_fma_f64 v[2:3], v[2:3], -0.5, v[10:11]
	;; [unrolled: 1-line block ×3, first 2 shown]
	v_add_f64 v[20:21], v[34:35], -v[32:33]
	v_add_f64 v[22:23], v[30:31], -v[28:29]
	v_fma_f64 v[74:75], v[74:75], -0.5, v[12:13]
	v_add_f64 v[18:19], v[78:79], v[70:71]
	v_fma_f64 v[78:79], v[38:39], -0.5, v[14:15]
	v_fma_f64 v[12:13], v[36:37], -0.5, v[4:5]
	;; [unrolled: 1-line block ×3, first 2 shown]
	v_add_f64 v[36:37], v[84:85], v[44:45]
	v_add_f64 v[38:39], v[90:91], v[46:47]
	;; [unrolled: 1-line block ×3, first 2 shown]
	v_fma_f64 v[8:9], v[66:67], s[4:5], v[92:93]
	v_fma_f64 v[40:41], v[66:67], s[2:3], v[92:93]
	;; [unrolled: 1-line block ×14, first 2 shown]
	ds_write_b128 v57, v[36:39]
	ds_write_b128 v57, v[62:65] offset:176
	ds_write_b128 v57, v[66:69] offset:352
	v_mul_u32_u24_e32 v36, 0x210, v108
	v_lshlrev_b32_e32 v37, 4, v109
	v_add3_u32 v36, 0, v36, v37
	ds_write_b128 v36, v[24:27]
	ds_write_b128 v36, v[8:11] offset:176
	ds_write_b128 v36, v[40:43] offset:352
	v_mul_u32_u24_e32 v8, 0x210, v110
	v_lshlrev_b32_e32 v9, 4, v111
	v_add3_u32 v8, 0, v8, v9
	ds_write_b128 v8, v[16:19]
	ds_write_b128 v8, v[44:47] offset:176
	ds_write_b128 v8, v[70:73] offset:352
	s_and_saveexec_b64 s[4:5], vcc
	s_cbranch_execz .LBB0_17
; %bb.16:
	v_mul_f64 v[8:9], v[22:23], s[2:3]
	v_add_f64 v[10:11], v[6:7], v[34:35]
	v_add_f64 v[4:5], v[4:5], v[30:31]
	v_mul_f64 v[16:17], v[20:21], s[2:3]
	v_add_f64 v[6:7], v[8:9], v[14:15]
	v_add_f64 v[10:11], v[10:11], v[32:33]
	;; [unrolled: 1-line block ×3, first 2 shown]
	v_add_f64 v[4:5], v[12:13], -v[16:17]
	v_mul_lo_u16_e32 v12, 33, v53
	v_lshlrev_b32_e32 v13, 4, v56
	v_lshlrev_b32_e32 v12, 4, v12
	v_add3_u32 v12, 0, v13, v12
	ds_write_b128 v12, v[8:11]
	ds_write_b128 v12, v[4:7] offset:176
	ds_write_b128 v12, v[0:3] offset:352
.LBB0_17:
	s_or_b64 exec, exec, s[4:5]
	s_movk_i32 s2, 0xf9
	v_mul_lo_u16_sdwa v4, v48, s2 dst_sel:DWORD dst_unused:UNUSED_PAD src0_sel:BYTE_0 src1_sel:DWORD
	v_lshrrev_b16_e32 v16, 13, v4
	v_mul_lo_u16_e32 v4, 33, v16
	v_sub_u16_e32 v17, v48, v4
	v_mov_b32_e32 v4, 10
	v_mul_u32_u24_sdwa v4, v17, v4 dst_sel:DWORD dst_unused:UNUSED_PAD src0_sel:BYTE_0 src1_sel:DWORD
	v_lshlrev_b32_e32 v46, 4, v4
	s_waitcnt lgkmcnt(0)
	s_barrier
	global_load_dwordx4 v[4:7], v46, s[8:9] offset:352
	global_load_dwordx4 v[8:11], v46, s[8:9] offset:368
	;; [unrolled: 1-line block ×10, first 2 shown]
	ds_read_b128 v[62:65], v61
	ds_read_b128 v[66:69], v60
	;; [unrolled: 1-line block ×4, first 2 shown]
	ds_read_b128 v[78:81], v58 offset:8448
	ds_read_b128 v[82:85], v58 offset:10560
	;; [unrolled: 1-line block ×7, first 2 shown]
	s_mov_b32 s22, 0xf8bb580b
	s_mov_b32 s6, 0x43842ef
	;; [unrolled: 1-line block ×25, first 2 shown]
	v_mul_u32_u24_e32 v16, 0x16b0, v16
	v_lshlrev_b32_sdwa v17, v49, v17 dst_sel:DWORD dst_unused:UNUSED_PAD src0_sel:DWORD src1_sel:BYTE_0
	v_add3_u32 v16, 0, v16, v17
	s_waitcnt vmcnt(0) lgkmcnt(0)
	s_barrier
	v_mul_f64 v[46:47], v[64:65], v[6:7]
	v_mul_f64 v[6:7], v[62:63], v[6:7]
	;; [unrolled: 1-line block ×13, first 2 shown]
	v_fma_f64 v[46:47], v[62:63], v[4:5], v[46:47]
	v_fma_f64 v[4:5], v[64:65], v[4:5], -v[6:7]
	v_mul_f64 v[6:7], v[94:95], v[36:37]
	v_mul_f64 v[36:37], v[100:101], v[40:41]
	;; [unrolled: 1-line block ×5, first 2 shown]
	v_fma_f64 v[56:57], v[66:67], v[8:9], v[56:57]
	v_fma_f64 v[8:9], v[68:69], v[8:9], -v[10:11]
	v_fma_f64 v[64:65], v[80:81], v[18:19], -v[20:21]
	v_fma_f64 v[66:67], v[82:83], v[22:23], v[110:111]
	v_fma_f64 v[22:23], v[84:85], v[22:23], -v[24:25]
	v_fma_f64 v[24:25], v[86:87], v[26:27], v[112:113]
	;; [unrolled: 2-line block ×5, first 2 shown]
	v_fma_f64 v[34:35], v[100:101], v[38:39], -v[40:41]
	v_add_f64 v[36:37], v[70:71], v[46:47]
	v_add_f64 v[38:39], v[72:73], v[4:5]
	v_mul_f64 v[62:63], v[104:105], v[44:45]
	v_mul_f64 v[10:11], v[102:103], v[44:45]
	v_fma_f64 v[44:45], v[74:75], v[12:13], v[106:107]
	v_fma_f64 v[12:13], v[76:77], v[12:13], -v[14:15]
	v_fma_f64 v[14:15], v[78:79], v[18:19], v[108:109]
	v_add_f64 v[68:69], v[8:9], v[34:35]
	v_add_f64 v[36:37], v[36:37], v[56:57]
	;; [unrolled: 1-line block ×3, first 2 shown]
	v_fma_f64 v[18:19], v[102:103], v[42:43], v[62:63]
	v_fma_f64 v[10:11], v[104:105], v[42:43], -v[10:11]
	v_add_f64 v[8:9], v[8:9], -v[34:35]
	v_add_f64 v[62:63], v[56:57], v[20:21]
	v_add_f64 v[56:57], v[56:57], -v[20:21]
	v_mul_f64 v[92:93], v[68:69], s[4:5]
	v_add_f64 v[36:37], v[36:37], v[44:45]
	v_add_f64 v[38:39], v[38:39], v[12:13]
	v_add_f64 v[40:41], v[46:47], v[18:19]
	v_add_f64 v[42:43], v[4:5], v[10:11]
	v_add_f64 v[4:5], v[4:5], -v[10:11]
	v_add_f64 v[46:47], v[46:47], -v[18:19]
	v_mul_f64 v[90:91], v[8:9], s[2:3]
	v_add_f64 v[36:37], v[36:37], v[14:15]
	v_add_f64 v[38:39], v[38:39], v[64:65]
	v_mul_f64 v[76:77], v[42:43], s[16:17]
	v_mul_f64 v[74:75], v[4:5], s[22:23]
	;; [unrolled: 1-line block ×5, first 2 shown]
	v_add_f64 v[36:37], v[36:37], v[66:67]
	v_add_f64 v[38:39], v[38:39], v[22:23]
	v_mul_f64 v[80:81], v[42:43], s[4:5]
	v_mul_f64 v[84:85], v[42:43], s[14:15]
	;; [unrolled: 1-line block ×5, first 2 shown]
	v_fma_f64 v[94:95], v[40:41], s[16:17], v[74:75]
	v_add_f64 v[36:37], v[36:37], v[24:25]
	v_add_f64 v[38:39], v[38:39], v[26:27]
	v_fma_f64 v[102:103], v[40:41], s[14:15], v[82:83]
	v_fma_f64 v[82:83], v[40:41], s[14:15], -v[82:83]
	v_fma_f64 v[106:107], v[40:41], s[26:27], v[86:87]
	v_fma_f64 v[96:97], v[46:47], s[20:21], v[76:77]
	v_fma_f64 v[74:75], v[40:41], s[16:17], -v[74:75]
	v_fma_f64 v[98:99], v[40:41], s[4:5], v[78:79]
	v_add_f64 v[36:37], v[36:37], v[28:29]
	v_add_f64 v[38:39], v[38:39], v[30:31]
	v_fma_f64 v[78:79], v[40:41], s[4:5], -v[78:79]
	v_fma_f64 v[104:105], v[46:47], s[18:19], v[84:85]
	v_fma_f64 v[84:85], v[46:47], s[6:7], v[84:85]
	;; [unrolled: 1-line block ×3, first 2 shown]
	v_fma_f64 v[86:87], v[40:41], s[26:27], -v[86:87]
	v_fma_f64 v[110:111], v[40:41], s[34:35], v[4:5]
	v_add_f64 v[36:37], v[36:37], v[32:33]
	v_add_f64 v[38:39], v[38:39], v[6:7]
	v_fma_f64 v[112:113], v[46:47], s[36:37], v[42:43]
	v_add_f64 v[94:95], v[70:71], v[94:95]
	v_fma_f64 v[4:5], v[40:41], s[34:35], -v[4:5]
	v_fma_f64 v[76:77], v[46:47], s[22:23], v[76:77]
	v_fma_f64 v[100:101], v[46:47], s[10:11], v[80:81]
	;; [unrolled: 1-line block ×3, first 2 shown]
	v_add_f64 v[20:21], v[36:37], v[20:21]
	v_add_f64 v[34:35], v[38:39], v[34:35]
	;; [unrolled: 1-line block ×4, first 2 shown]
	v_fma_f64 v[106:107], v[62:63], s[4:5], v[90:91]
	v_fma_f64 v[88:89], v[46:47], s[24:25], v[88:89]
	v_add_f64 v[96:97], v[72:73], v[96:97]
	v_add_f64 v[74:75], v[70:71], v[74:75]
	;; [unrolled: 1-line block ×4, first 2 shown]
	v_fma_f64 v[10:11], v[46:47], s[30:31], v[42:43]
	v_mul_f64 v[42:43], v[8:9], s[24:25]
	v_add_f64 v[98:99], v[70:71], v[98:99]
	v_add_f64 v[78:79], v[70:71], v[78:79]
	;; [unrolled: 1-line block ×7, first 2 shown]
	v_mul_f64 v[46:47], v[68:69], s[26:27]
	v_fma_f64 v[108:109], v[56:57], s[10:11], v[92:93]
	v_add_f64 v[4:5], v[70:71], v[4:5]
	v_fma_f64 v[70:71], v[62:63], s[4:5], -v[90:91]
	v_fma_f64 v[90:91], v[62:63], s[26:27], v[42:43]
	v_add_f64 v[94:95], v[106:107], v[94:95]
	v_mul_f64 v[106:107], v[8:9], s[36:37]
	v_add_f64 v[76:77], v[72:73], v[76:77]
	v_add_f64 v[100:101], v[72:73], v[100:101]
	;; [unrolled: 1-line block ×7, first 2 shown]
	v_fma_f64 v[72:73], v[56:57], s[2:3], v[92:93]
	v_fma_f64 v[92:93], v[56:57], s[28:29], v[46:47]
	v_add_f64 v[96:97], v[108:109], v[96:97]
	v_mul_f64 v[108:109], v[68:69], s[34:35]
	v_add_f64 v[70:71], v[70:71], v[74:75]
	v_add_f64 v[74:75], v[90:91], v[98:99]
	v_fma_f64 v[42:43], v[62:63], s[26:27], -v[42:43]
	v_fma_f64 v[90:91], v[62:63], s[34:35], v[106:107]
	v_mul_f64 v[98:99], v[8:9], s[18:19]
	v_add_f64 v[72:73], v[72:73], v[76:77]
	v_add_f64 v[76:77], v[92:93], v[100:101]
	v_fma_f64 v[46:47], v[56:57], s[24:25], v[46:47]
	v_fma_f64 v[92:93], v[56:57], s[30:31], v[108:109]
	v_mul_f64 v[100:101], v[68:69], s[14:15]
	v_add_f64 v[42:43], v[42:43], v[78:79]
	v_add_f64 v[78:79], v[90:91], v[102:103]
	v_fma_f64 v[90:91], v[62:63], s[14:15], v[98:99]
	v_fma_f64 v[98:99], v[62:63], s[14:15], -v[98:99]
	v_mul_f64 v[8:9], v[8:9], s[20:21]
	v_add_f64 v[46:47], v[46:47], v[80:81]
	v_add_f64 v[80:81], v[92:93], v[104:105]
	v_fma_f64 v[92:93], v[56:57], s[6:7], v[100:101]
	v_fma_f64 v[100:101], v[56:57], s[18:19], v[100:101]
	v_mul_f64 v[68:69], v[68:69], s[16:17]
	v_add_f64 v[82:83], v[90:91], v[82:83]
	v_add_f64 v[90:91], v[12:13], -v[6:7]
	v_add_f64 v[6:7], v[12:13], v[6:7]
	v_add_f64 v[12:13], v[98:99], v[86:87]
	;; [unrolled: 1-line block ×3, first 2 shown]
	v_add_f64 v[32:33], v[44:45], -v[32:33]
	v_add_f64 v[86:87], v[100:101], v[88:89]
	v_fma_f64 v[88:89], v[62:63], s[16:17], v[8:9]
	v_fma_f64 v[108:109], v[56:57], s[36:37], v[108:109]
	v_mul_f64 v[44:45], v[90:91], s[6:7]
	v_add_f64 v[84:85], v[92:93], v[84:85]
	v_fma_f64 v[92:93], v[56:57], s[22:23], v[68:69]
	v_mul_f64 v[100:101], v[6:7], s[14:15]
	v_fma_f64 v[8:9], v[62:63], s[16:17], -v[8:9]
	v_fma_f64 v[56:57], v[56:57], s[20:21], v[68:69]
	v_add_f64 v[34:35], v[88:89], v[34:35]
	v_mul_f64 v[68:69], v[6:7], s[34:35]
	v_fma_f64 v[88:89], v[98:99], s[14:15], v[44:45]
	v_fma_f64 v[106:107], v[62:63], s[34:35], -v[106:107]
	v_add_f64 v[40:41], v[92:93], v[40:41]
	v_mul_f64 v[62:63], v[90:91], s[36:37]
	v_fma_f64 v[92:93], v[32:33], s[18:19], v[100:101]
	v_add_f64 v[4:5], v[8:9], v[4:5]
	v_add_f64 v[8:9], v[56:57], v[10:11]
	v_fma_f64 v[10:11], v[98:99], s[14:15], -v[44:45]
	v_fma_f64 v[44:45], v[32:33], s[6:7], v[100:101]
	v_fma_f64 v[100:101], v[32:33], s[30:31], v[68:69]
	v_add_f64 v[88:89], v[88:89], v[94:95]
	v_mul_f64 v[94:95], v[90:91], s[10:11]
	v_fma_f64 v[56:57], v[98:99], s[34:35], v[62:63]
	v_add_f64 v[92:93], v[92:93], v[96:97]
	v_mul_f64 v[96:97], v[6:7], s[4:5]
	v_add_f64 v[10:11], v[10:11], v[70:71]
	v_add_f64 v[44:45], v[44:45], v[72:73]
	;; [unrolled: 1-line block ×3, first 2 shown]
	v_fma_f64 v[62:63], v[98:99], s[34:35], -v[62:63]
	v_fma_f64 v[72:73], v[98:99], s[4:5], v[94:95]
	v_mul_f64 v[76:77], v[90:91], s[22:23]
	v_add_f64 v[56:57], v[56:57], v[74:75]
	v_fma_f64 v[68:69], v[32:33], s[36:37], v[68:69]
	v_fma_f64 v[74:75], v[32:33], s[2:3], v[96:97]
	v_mul_f64 v[100:101], v[6:7], s[16:17]
	v_mul_f64 v[6:7], v[6:7], s[26:27]
	v_add_f64 v[42:43], v[62:63], v[42:43]
	v_add_f64 v[62:63], v[72:73], v[78:79]
	v_fma_f64 v[72:73], v[98:99], s[16:17], v[76:77]
	v_mul_f64 v[78:79], v[90:91], s[24:25]
	v_add_f64 v[46:47], v[68:69], v[46:47]
	v_add_f64 v[68:69], v[74:75], v[80:81]
	v_fma_f64 v[74:75], v[32:33], s[20:21], v[100:101]
	v_fma_f64 v[76:77], v[98:99], s[16:17], -v[76:77]
	v_fma_f64 v[80:81], v[32:33], s[22:23], v[100:101]
	v_fma_f64 v[96:97], v[32:33], s[10:11], v[96:97]
	v_add_f64 v[72:73], v[72:73], v[82:83]
	v_add_f64 v[82:83], v[64:65], -v[30:31]
	v_add_f64 v[30:31], v[64:65], v[30:31]
	v_fma_f64 v[64:65], v[98:99], s[26:27], v[78:79]
	v_add_f64 v[74:75], v[74:75], v[84:85]
	v_fma_f64 v[84:85], v[32:33], s[28:29], v[6:7]
	v_add_f64 v[12:13], v[76:77], v[12:13]
	v_add_f64 v[76:77], v[80:81], v[86:87]
	;; [unrolled: 1-line block ×3, first 2 shown]
	v_add_f64 v[14:15], v[14:15], -v[28:29]
	v_mul_f64 v[28:29], v[82:83], s[24:25]
	v_mul_f64 v[86:87], v[30:31], s[26:27]
	v_add_f64 v[34:35], v[64:65], v[34:35]
	v_fma_f64 v[64:65], v[98:99], s[26:27], -v[78:79]
	v_fma_f64 v[6:7], v[32:33], s[24:25], v[6:7]
	v_mul_f64 v[32:33], v[82:83], s[18:19]
	v_mul_f64 v[78:79], v[30:31], s[14:15]
	v_add_f64 v[40:41], v[84:85], v[40:41]
	v_fma_f64 v[84:85], v[80:81], s[26:27], v[28:29]
	v_fma_f64 v[90:91], v[14:15], s[28:29], v[86:87]
	v_fma_f64 v[28:29], v[80:81], s[26:27], -v[28:29]
	v_fma_f64 v[86:87], v[14:15], s[24:25], v[86:87]
	v_add_f64 v[4:5], v[64:65], v[4:5]
	v_add_f64 v[6:7], v[6:7], v[8:9]
	v_fma_f64 v[8:9], v[80:81], s[14:15], v[32:33]
	v_fma_f64 v[64:65], v[14:15], s[6:7], v[78:79]
	v_add_f64 v[36:37], v[106:107], v[36:37]
	v_add_f64 v[38:39], v[108:109], v[38:39]
	v_fma_f64 v[94:95], v[98:99], s[4:5], -v[94:95]
	v_add_f64 v[10:11], v[28:29], v[10:11]
	v_add_f64 v[28:29], v[86:87], v[44:45]
	v_mul_f64 v[44:45], v[82:83], s[22:23]
	v_mul_f64 v[86:87], v[30:31], s[16:17]
	v_add_f64 v[56:57], v[8:9], v[56:57]
	v_add_f64 v[64:65], v[64:65], v[70:71]
	v_mul_f64 v[8:9], v[82:83], s[30:31]
	v_mul_f64 v[70:71], v[30:31], s[34:35]
	v_add_f64 v[36:37], v[94:95], v[36:37]
	v_add_f64 v[38:39], v[96:97], v[38:39]
	;; [unrolled: 1-line block ×4, first 2 shown]
	v_fma_f64 v[32:33], v[80:81], s[14:15], -v[32:33]
	v_fma_f64 v[78:79], v[14:15], s[18:19], v[78:79]
	v_fma_f64 v[90:91], v[80:81], s[16:17], v[44:45]
	;; [unrolled: 1-line block ×3, first 2 shown]
	v_fma_f64 v[44:45], v[80:81], s[16:17], -v[44:45]
	v_fma_f64 v[94:95], v[80:81], s[34:35], v[8:9]
	v_fma_f64 v[96:97], v[14:15], s[36:37], v[70:71]
	;; [unrolled: 1-line block ×3, first 2 shown]
	v_add_f64 v[32:33], v[32:33], v[42:43]
	v_add_f64 v[42:43], v[78:79], v[46:47]
	;; [unrolled: 1-line block ×7, first 2 shown]
	v_add_f64 v[72:73], v[22:23], -v[26:27]
	v_add_f64 v[74:75], v[22:23], v[26:27]
	v_mul_f64 v[22:23], v[82:83], s[10:11]
	v_mul_f64 v[26:27], v[30:31], s[4:5]
	v_fma_f64 v[8:9], v[80:81], s[34:35], -v[8:9]
	v_fma_f64 v[30:31], v[14:15], s[30:31], v[70:71]
	v_add_f64 v[70:71], v[66:67], v[24:25]
	v_add_f64 v[66:67], v[66:67], -v[24:25]
	v_mul_f64 v[78:79], v[72:73], s[30:31]
	v_add_f64 v[38:39], v[86:87], v[38:39]
	v_fma_f64 v[24:25], v[80:81], s[4:5], v[22:23]
	v_mul_f64 v[82:83], v[74:75], s[34:35]
	v_fma_f64 v[86:87], v[14:15], s[2:3], v[26:27]
	v_add_f64 v[90:91], v[8:9], v[12:13]
	v_add_f64 v[76:77], v[30:31], v[76:77]
	v_fma_f64 v[8:9], v[80:81], s[4:5], -v[22:23]
	v_fma_f64 v[12:13], v[14:15], s[10:11], v[26:27]
	v_fma_f64 v[14:15], v[70:71], s[34:35], v[78:79]
	v_add_f64 v[80:81], v[24:25], v[34:35]
	v_mul_f64 v[30:31], v[72:73], s[20:21]
	v_mul_f64 v[34:35], v[74:75], s[16:17]
	v_fma_f64 v[26:27], v[66:67], s[36:37], v[82:83]
	v_add_f64 v[86:87], v[86:87], v[40:41]
	v_add_f64 v[92:93], v[8:9], v[4:5]
	;; [unrolled: 1-line block ×4, first 2 shown]
	v_fma_f64 v[4:5], v[70:71], s[34:35], -v[78:79]
	v_fma_f64 v[6:7], v[66:67], s[30:31], v[82:83]
	v_fma_f64 v[12:13], v[70:71], s[16:17], v[30:31]
	;; [unrolled: 1-line block ×3, first 2 shown]
	v_mul_f64 v[40:41], v[72:73], s[24:25]
	v_mul_f64 v[78:79], v[74:75], s[26:27]
	v_fma_f64 v[34:35], v[66:67], s[20:21], v[34:35]
	v_add_f64 v[24:25], v[26:27], v[88:89]
	v_fma_f64 v[30:31], v[70:71], s[16:17], -v[30:31]
	v_add_f64 v[8:9], v[4:5], v[10:11]
	v_add_f64 v[10:11], v[6:7], v[28:29]
	;; [unrolled: 1-line block ×4, first 2 shown]
	v_fma_f64 v[12:13], v[70:71], s[26:27], v[40:41]
	v_fma_f64 v[14:15], v[66:67], s[28:29], v[78:79]
	v_add_f64 v[6:7], v[34:35], v[42:43]
	v_fma_f64 v[34:35], v[70:71], s[26:27], -v[40:41]
	v_mul_f64 v[42:43], v[72:73], s[10:11]
	v_mul_f64 v[56:57], v[74:75], s[4:5]
	v_add_f64 v[4:5], v[30:31], v[32:33]
	v_fma_f64 v[40:41], v[66:67], s[24:25], v[78:79]
	v_add_f64 v[30:31], v[12:13], v[46:47]
	v_add_f64 v[32:33], v[14:15], v[62:63]
	v_mul_f64 v[46:47], v[72:73], s[6:7]
	v_mul_f64 v[62:63], v[74:75], s[14:15]
	v_add_f64 v[12:13], v[34:35], v[36:37]
	v_fma_f64 v[34:35], v[70:71], s[4:5], v[42:43]
	v_fma_f64 v[36:37], v[66:67], s[2:3], v[56:57]
	v_add_f64 v[14:15], v[40:41], v[38:39]
	v_fma_f64 v[38:39], v[70:71], s[4:5], -v[42:43]
	v_fma_f64 v[40:41], v[66:67], s[10:11], v[56:57]
	v_fma_f64 v[42:43], v[70:71], s[14:15], v[46:47]
	;; [unrolled: 1-line block ×3, first 2 shown]
	v_fma_f64 v[46:47], v[70:71], s[14:15], -v[46:47]
	v_fma_f64 v[64:65], v[66:67], s[6:7], v[62:63]
	v_add_f64 v[34:35], v[34:35], v[44:45]
	v_add_f64 v[36:37], v[36:37], v[68:69]
	;; [unrolled: 1-line block ×8, first 2 shown]
	ds_write_b128 v16, v[18:21]
	ds_write_b128 v16, v[22:25] offset:528
	ds_write_b128 v16, v[26:29] offset:1056
	;; [unrolled: 1-line block ×10, first 2 shown]
	s_waitcnt lgkmcnt(0)
	s_barrier
	ds_read_b128 v[16:19], v58
	ds_read_b128 v[20:23], v61
	ds_read_b128 v[36:39], v58 offset:5808
	ds_read_b128 v[24:27], v58 offset:7920
	;; [unrolled: 1-line block ×6, first 2 shown]
	s_movk_i32 s2, 0x63
	v_cmp_gt_u32_e32 vcc, s2, v48
	s_and_saveexec_b64 s[2:3], vcc
	s_cbranch_execz .LBB0_19
; %bb.18:
	ds_read_b128 v[12:15], v60
	ds_read_b128 v[4:7], v58 offset:10032
	ds_read_b128 v[8:11], v58 offset:15840
	;; [unrolled: 1-line block ×3, first 2 shown]
.LBB0_19:
	s_or_b64 exec, exec, s[2:3]
	v_mul_u32_u24_e32 v49, 3, v48
	v_lshlrev_b32_e32 v49, 4, v49
	v_mov_b32_e32 v53, s9
	v_add_co_u32_e64 v49, s[2:3], s8, v49
	v_addc_co_u32_e64 v56, s[2:3], 0, v53, s[2:3]
	s_movk_i32 s5, 0x1600
	v_add_co_u32_e64 v74, s[2:3], s5, v49
	v_addc_co_u32_e64 v75, s[2:3], 0, v56, s[2:3]
	s_movk_i32 s4, 0x1000
	v_add_co_u32_e64 v76, s[2:3], s4, v49
	v_mov_b32_e32 v57, 0
	v_addc_co_u32_e64 v77, s[2:3], 0, v56, s[2:3]
	v_mul_i32_i24_e32 v56, 3, v52
	global_load_dwordx4 v[62:65], v[76:77], off offset:1536
	global_load_dwordx4 v[66:69], v[74:75], off offset:32
	;; [unrolled: 1-line block ×3, first 2 shown]
	v_lshlrev_b64 v[74:75], 4, v[56:57]
	v_add_co_u32_e64 v49, s[2:3], s8, v74
	v_addc_co_u32_e64 v53, s[2:3], v53, v75, s[2:3]
	v_add_co_u32_e64 v74, s[2:3], s4, v49
	v_addc_co_u32_e64 v75, s[2:3], 0, v53, s[2:3]
	;; [unrolled: 2-line block ×3, first 2 shown]
	global_load_dwordx4 v[74:77], v[74:75], off offset:1536
	s_nop 0
	global_load_dwordx4 v[78:81], v[86:87], off offset:16
	global_load_dwordx4 v[82:85], v[86:87], off offset:32
	s_waitcnt vmcnt(0) lgkmcnt(0)
	s_barrier
	v_mul_f64 v[86:87], v[38:39], v[64:65]
	v_mul_f64 v[64:65], v[36:37], v[64:65]
	;; [unrolled: 1-line block ×6, first 2 shown]
	v_fma_f64 v[36:37], v[36:37], v[62:63], v[86:87]
	v_fma_f64 v[38:39], v[38:39], v[62:63], -v[64:65]
	v_fma_f64 v[40:41], v[40:41], v[70:71], v[88:89]
	v_fma_f64 v[42:43], v[42:43], v[70:71], -v[72:73]
	;; [unrolled: 2-line block ×3, first 2 shown]
	v_mul_f64 v[92:93], v[26:27], v[76:77]
	v_mul_f64 v[76:77], v[24:25], v[76:77]
	;; [unrolled: 1-line block ×6, first 2 shown]
	v_add_f64 v[40:41], v[16:17], -v[40:41]
	v_add_f64 v[42:43], v[18:19], -v[42:43]
	v_fma_f64 v[24:25], v[24:25], v[74:75], v[92:93]
	v_fma_f64 v[26:27], v[26:27], v[74:75], -v[76:77]
	v_fma_f64 v[28:29], v[28:29], v[78:79], v[94:95]
	v_fma_f64 v[30:31], v[30:31], v[78:79], -v[80:81]
	;; [unrolled: 2-line block ×3, first 2 shown]
	v_add_f64 v[44:45], v[36:37], -v[44:45]
	v_add_f64 v[46:47], v[38:39], -v[46:47]
	v_fma_f64 v[66:67], v[16:17], 2.0, -v[40:41]
	v_fma_f64 v[68:69], v[18:19], 2.0, -v[42:43]
	v_add_f64 v[62:63], v[20:21], -v[28:29]
	v_add_f64 v[64:65], v[22:23], -v[30:31]
	;; [unrolled: 1-line block ×4, first 2 shown]
	v_fma_f64 v[32:33], v[36:37], 2.0, -v[44:45]
	v_fma_f64 v[34:35], v[38:39], 2.0, -v[46:47]
	v_add_f64 v[16:17], v[40:41], v[46:47]
	v_add_f64 v[18:19], v[42:43], -v[44:45]
	v_fma_f64 v[70:71], v[20:21], 2.0, -v[62:63]
	v_fma_f64 v[72:73], v[22:23], 2.0, -v[64:65]
	;; [unrolled: 1-line block ×4, first 2 shown]
	v_add_f64 v[24:25], v[66:67], -v[32:33]
	v_add_f64 v[26:27], v[68:69], -v[34:35]
	v_add_f64 v[20:21], v[62:63], v[30:31]
	v_add_f64 v[22:23], v[64:65], -v[28:29]
	v_fma_f64 v[32:33], v[40:41], 2.0, -v[16:17]
	v_fma_f64 v[34:35], v[42:43], 2.0, -v[18:19]
	v_add_f64 v[28:29], v[70:71], -v[36:37]
	v_add_f64 v[30:31], v[72:73], -v[38:39]
	v_fma_f64 v[40:41], v[66:67], 2.0, -v[24:25]
	v_fma_f64 v[42:43], v[68:69], 2.0, -v[26:27]
	;; [unrolled: 1-line block ×6, first 2 shown]
	ds_write_b128 v58, v[16:19] offset:17424
	ds_write_b128 v58, v[32:35] offset:5808
	;; [unrolled: 1-line block ×3, first 2 shown]
	ds_write_b128 v58, v[40:43]
	ds_write_b128 v61, v[36:39] offset:5808
	ds_write_b128 v61, v[28:31] offset:11616
	ds_write_b128 v61, v[44:47]
	ds_write_b128 v61, v[20:23] offset:17424
	s_and_saveexec_b64 s[2:3], vcc
	s_cbranch_execz .LBB0_21
; %bb.20:
	v_add_u32_e32 v16, 0xffffff9d, v48
	v_cndmask_b32_e32 v16, v16, v55, vcc
	v_mul_i32_i24_e32 v56, 3, v16
	v_lshlrev_b64 v[16:17], 4, v[56:57]
	v_mov_b32_e32 v18, s9
	v_add_co_u32_e32 v16, vcc, s8, v16
	v_addc_co_u32_e32 v27, vcc, v18, v17, vcc
	v_add_co_u32_e32 v24, vcc, 0x1600, v16
	v_addc_co_u32_e32 v25, vcc, 0, v27, vcc
	;; [unrolled: 2-line block ×3, first 2 shown]
	global_load_dwordx4 v[16:19], v[24:25], off offset:32
	global_load_dwordx4 v[20:23], v[24:25], off offset:16
	s_waitcnt vmcnt(1)
	v_mul_f64 v[30:31], v[2:3], v[18:19]
	global_load_dwordx4 v[24:27], v[26:27], off offset:1536
	s_waitcnt vmcnt(1)
	v_mul_f64 v[28:29], v[8:9], v[22:23]
	v_mul_f64 v[22:23], v[10:11], v[22:23]
	;; [unrolled: 1-line block ×3, first 2 shown]
	v_fma_f64 v[0:1], v[0:1], v[16:17], v[30:31]
	v_fma_f64 v[10:11], v[10:11], v[20:21], -v[28:29]
	v_fma_f64 v[8:9], v[8:9], v[20:21], v[22:23]
	v_fma_f64 v[2:3], v[2:3], v[16:17], -v[18:19]
	v_add_f64 v[10:11], v[14:15], -v[10:11]
	v_add_f64 v[8:9], v[12:13], -v[8:9]
	v_fma_f64 v[14:15], v[14:15], 2.0, -v[10:11]
	v_fma_f64 v[12:13], v[12:13], 2.0, -v[8:9]
	s_waitcnt vmcnt(0)
	v_mul_f64 v[32:33], v[4:5], v[26:27]
	v_mul_f64 v[26:27], v[6:7], v[26:27]
	v_fma_f64 v[6:7], v[6:7], v[24:25], -v[32:33]
	v_fma_f64 v[4:5], v[4:5], v[24:25], v[26:27]
	v_add_f64 v[16:17], v[6:7], -v[2:3]
	v_add_f64 v[0:1], v[4:5], -v[0:1]
	v_fma_f64 v[6:7], v[6:7], 2.0, -v[16:17]
	v_fma_f64 v[4:5], v[4:5], 2.0, -v[0:1]
	v_add_f64 v[2:3], v[10:11], -v[0:1]
	v_add_f64 v[0:1], v[8:9], v[16:17]
	v_add_f64 v[6:7], v[14:15], -v[6:7]
	v_add_f64 v[4:5], v[12:13], -v[4:5]
	v_fma_f64 v[10:11], v[10:11], 2.0, -v[2:3]
	v_fma_f64 v[8:9], v[8:9], 2.0, -v[0:1]
	;; [unrolled: 1-line block ×4, first 2 shown]
	ds_write_b128 v58, v[8:11] offset:10032
	ds_write_b128 v58, v[4:7] offset:15840
	;; [unrolled: 1-line block ×4, first 2 shown]
.LBB0_21:
	s_or_b64 exec, exec, s[2:3]
	s_waitcnt lgkmcnt(0)
	s_barrier
	ds_read_b128 v[4:7], v58
	s_add_u32 s4, s8, 0x5a10
	v_lshlrev_b32_e32 v0, 4, v48
	s_addc_u32 s5, s9, 0
	v_sub_u32_e32 v10, 0, v0
	v_cmp_ne_u32_e32 vcc, 0, v48
                                        ; implicit-def: $vgpr2_vgpr3
                                        ; implicit-def: $vgpr8_vgpr9
	s_and_saveexec_b64 s[2:3], vcc
	s_xor_b64 s[2:3], exec, s[2:3]
	s_cbranch_execz .LBB0_23
; %bb.22:
	v_mov_b32_e32 v49, 0
	v_lshlrev_b64 v[0:1], 4, v[48:49]
	v_mov_b32_e32 v2, s5
	v_add_co_u32_e32 v0, vcc, s4, v0
	v_addc_co_u32_e32 v1, vcc, v2, v1, vcc
	global_load_dwordx4 v[11:14], v[0:1], off
	ds_read_b128 v[0:3], v10 offset:23232
	s_waitcnt lgkmcnt(0)
	v_add_f64 v[8:9], v[4:5], -v[0:1]
	v_add_f64 v[15:16], v[6:7], v[2:3]
	v_add_f64 v[2:3], v[6:7], -v[2:3]
	v_add_f64 v[0:1], v[4:5], v[0:1]
	v_mul_f64 v[6:7], v[8:9], 0.5
	v_mul_f64 v[4:5], v[15:16], 0.5
	;; [unrolled: 1-line block ×3, first 2 shown]
	s_waitcnt vmcnt(0)
	v_mul_f64 v[8:9], v[6:7], v[13:14]
	v_fma_f64 v[15:16], v[4:5], v[13:14], v[2:3]
	v_fma_f64 v[2:3], v[4:5], v[13:14], -v[2:3]
	v_fma_f64 v[17:18], v[0:1], 0.5, v[8:9]
	v_fma_f64 v[0:1], v[0:1], 0.5, -v[8:9]
	v_fma_f64 v[8:9], -v[11:12], v[6:7], v[15:16]
	v_fma_f64 v[2:3], -v[11:12], v[6:7], v[2:3]
	v_fma_f64 v[13:14], v[4:5], v[11:12], v[17:18]
	v_fma_f64 v[0:1], -v[4:5], v[11:12], v[0:1]
                                        ; implicit-def: $vgpr4_vgpr5
	ds_write_b64 v58, v[13:14]
.LBB0_23:
	s_andn2_saveexec_b64 s[2:3], s[2:3]
	s_cbranch_execz .LBB0_25
; %bb.24:
	s_waitcnt lgkmcnt(0)
	v_add_f64 v[2:3], v[4:5], v[6:7]
	v_mov_b32_e32 v13, 0
	ds_read_b64 v[11:12], v13 offset:11624
	v_add_f64 v[0:1], v[4:5], -v[6:7]
	v_mov_b32_e32 v8, 0
	v_mov_b32_e32 v9, 0
	s_waitcnt lgkmcnt(0)
	v_xor_b32_e32 v12, 0x80000000, v12
	ds_write_b64 v13, v[11:12] offset:11624
	ds_write_b64 v58, v[2:3]
	v_mov_b32_e32 v2, v8
	v_mov_b32_e32 v3, v9
.LBB0_25:
	s_or_b64 exec, exec, s[2:3]
	v_mov_b32_e32 v53, 0
	s_waitcnt lgkmcnt(0)
	v_lshlrev_b64 v[4:5], 4, v[52:53]
	v_mov_b32_e32 v6, s5
	v_add_co_u32_e32 v4, vcc, s4, v4
	v_addc_co_u32_e32 v5, vcc, v6, v5, vcc
	global_load_dwordx4 v[4:7], v[4:5], off
	v_mov_b32_e32 v56, v53
	v_lshlrev_b64 v[11:12], 4, v[55:56]
	v_mov_b32_e32 v13, s5
	v_add_co_u32_e32 v11, vcc, s4, v11
	v_addc_co_u32_e32 v12, vcc, v13, v12, vcc
	global_load_dwordx4 v[11:14], v[11:12], off
	ds_write_b64 v58, v[8:9] offset:8
	ds_write_b128 v10, v[0:3] offset:23232
	ds_read_b128 v[0:3], v61
	ds_read_b128 v[15:18], v10 offset:21120
	v_mov_b32_e32 v55, v53
	v_mov_b32_e32 v27, s5
	v_add_u32_e32 v52, 0x210, v48
	s_movk_i32 s2, 0x42
	s_waitcnt lgkmcnt(0)
	v_add_f64 v[8:9], v[0:1], -v[15:16]
	v_add_f64 v[19:20], v[2:3], v[17:18]
	v_add_f64 v[2:3], v[2:3], -v[17:18]
	v_add_f64 v[0:1], v[0:1], v[15:16]
	v_lshlrev_b64 v[15:16], 4, v[54:55]
	v_mul_f64 v[17:18], v[8:9], 0.5
	v_mul_f64 v[19:20], v[19:20], 0.5
	;; [unrolled: 1-line block ×3, first 2 shown]
	s_waitcnt vmcnt(1)
	v_mul_f64 v[8:9], v[17:18], v[6:7]
	v_fma_f64 v[21:22], v[19:20], v[6:7], v[2:3]
	v_fma_f64 v[6:7], v[19:20], v[6:7], -v[2:3]
	v_fma_f64 v[23:24], v[0:1], 0.5, v[8:9]
	v_fma_f64 v[25:26], v[0:1], 0.5, -v[8:9]
	v_add_co_u32_e32 v0, vcc, s4, v15
	v_addc_co_u32_e32 v1, vcc, v27, v16, vcc
	global_load_dwordx4 v[0:3], v[0:1], off
	v_fma_f64 v[8:9], -v[4:5], v[17:18], v[21:22]
	v_fma_f64 v[17:18], -v[4:5], v[17:18], v[6:7]
	v_fma_f64 v[6:7], v[19:20], v[4:5], v[23:24]
	v_fma_f64 v[15:16], -v[19:20], v[4:5], v[25:26]
	ds_write_b128 v61, v[6:9]
	ds_write_b128 v10, v[15:18] offset:21120
	ds_read_b128 v[4:7], v60
	ds_read_b128 v[15:18], v10 offset:19008
	s_waitcnt lgkmcnt(0)
	v_add_f64 v[8:9], v[4:5], -v[15:16]
	v_add_f64 v[19:20], v[6:7], v[17:18]
	v_add_f64 v[6:7], v[6:7], -v[17:18]
	v_add_f64 v[4:5], v[4:5], v[15:16]
	v_mul_f64 v[8:9], v[8:9], 0.5
	v_mul_f64 v[17:18], v[19:20], 0.5
	;; [unrolled: 1-line block ×3, first 2 shown]
	v_lshlrev_b64 v[19:20], 4, v[52:53]
	s_waitcnt vmcnt(1)
	v_mul_f64 v[15:16], v[8:9], v[13:14]
	v_fma_f64 v[21:22], v[17:18], v[13:14], v[6:7]
	v_fma_f64 v[13:14], v[17:18], v[13:14], -v[6:7]
	v_fma_f64 v[23:24], v[4:5], 0.5, v[15:16]
	v_fma_f64 v[25:26], v[4:5], 0.5, -v[15:16]
	v_add_co_u32_e32 v4, vcc, s4, v19
	v_addc_co_u32_e32 v5, vcc, v27, v20, vcc
	global_load_dwordx4 v[4:7], v[4:5], off
	v_fma_f64 v[15:16], -v[11:12], v[8:9], v[21:22]
	v_fma_f64 v[19:20], -v[11:12], v[8:9], v[13:14]
	v_fma_f64 v[13:14], v[17:18], v[11:12], v[23:24]
	v_fma_f64 v[17:18], -v[17:18], v[11:12], v[25:26]
	v_cmp_gt_u32_e32 vcc, s2, v48
	ds_write_b128 v60, v[13:16]
	ds_write_b128 v10, v[17:20] offset:19008
	ds_read_b128 v[11:14], v59
	ds_read_b128 v[15:18], v10 offset:16896
	s_waitcnt lgkmcnt(0)
	v_add_f64 v[8:9], v[11:12], -v[15:16]
	v_add_f64 v[19:20], v[13:14], v[17:18]
	v_add_f64 v[13:14], v[13:14], -v[17:18]
	v_add_f64 v[11:12], v[11:12], v[15:16]
	v_mul_f64 v[8:9], v[8:9], 0.5
	v_mul_f64 v[17:18], v[19:20], 0.5
	;; [unrolled: 1-line block ×3, first 2 shown]
	s_waitcnt vmcnt(1)
	v_mul_f64 v[15:16], v[8:9], v[2:3]
	v_fma_f64 v[19:20], v[17:18], v[2:3], v[13:14]
	v_fma_f64 v[2:3], v[17:18], v[2:3], -v[13:14]
	v_fma_f64 v[21:22], v[11:12], 0.5, v[15:16]
	v_fma_f64 v[15:16], v[11:12], 0.5, -v[15:16]
	v_fma_f64 v[13:14], -v[0:1], v[8:9], v[19:20]
	v_fma_f64 v[2:3], -v[0:1], v[8:9], v[2:3]
	v_fma_f64 v[11:12], v[17:18], v[0:1], v[21:22]
	v_fma_f64 v[0:1], -v[17:18], v[0:1], v[15:16]
	ds_write_b128 v59, v[11:14]
	ds_write_b128 v10, v[0:3] offset:16896
	ds_read_b128 v[0:3], v58 offset:8448
	ds_read_b128 v[11:14], v10 offset:14784
	s_waitcnt lgkmcnt(0)
	v_add_f64 v[8:9], v[0:1], -v[11:12]
	v_add_f64 v[15:16], v[2:3], v[13:14]
	v_add_f64 v[2:3], v[2:3], -v[13:14]
	v_add_f64 v[0:1], v[0:1], v[11:12]
	v_mul_f64 v[8:9], v[8:9], 0.5
	v_mul_f64 v[13:14], v[15:16], 0.5
	;; [unrolled: 1-line block ×3, first 2 shown]
	s_waitcnt vmcnt(0)
	v_mul_f64 v[11:12], v[8:9], v[6:7]
	v_fma_f64 v[15:16], v[13:14], v[6:7], v[2:3]
	v_fma_f64 v[6:7], v[13:14], v[6:7], -v[2:3]
	v_fma_f64 v[17:18], v[0:1], 0.5, v[11:12]
	v_fma_f64 v[11:12], v[0:1], 0.5, -v[11:12]
	v_fma_f64 v[2:3], -v[4:5], v[8:9], v[15:16]
	v_fma_f64 v[6:7], -v[4:5], v[8:9], v[6:7]
	v_fma_f64 v[0:1], v[13:14], v[4:5], v[17:18]
	v_fma_f64 v[4:5], -v[13:14], v[4:5], v[11:12]
	ds_write_b128 v58, v[0:3] offset:8448
	ds_write_b128 v10, v[4:7] offset:14784
	s_and_saveexec_b64 s[2:3], vcc
	s_cbranch_execz .LBB0_27
; %bb.26:
	v_add_u32_e32 v52, 0x294, v48
	v_lshlrev_b64 v[0:1], 4, v[52:53]
	v_mov_b32_e32 v2, s5
	v_add_co_u32_e32 v0, vcc, s4, v0
	v_addc_co_u32_e32 v1, vcc, v2, v1, vcc
	global_load_dwordx4 v[0:3], v[0:1], off
	ds_read_b128 v[4:7], v58 offset:10560
	ds_read_b128 v[11:14], v10 offset:12672
	s_waitcnt lgkmcnt(0)
	v_add_f64 v[8:9], v[4:5], -v[11:12]
	v_add_f64 v[15:16], v[6:7], v[13:14]
	v_add_f64 v[6:7], v[6:7], -v[13:14]
	v_add_f64 v[4:5], v[4:5], v[11:12]
	v_mul_f64 v[8:9], v[8:9], 0.5
	v_mul_f64 v[13:14], v[15:16], 0.5
	;; [unrolled: 1-line block ×3, first 2 shown]
	s_waitcnt vmcnt(0)
	v_mul_f64 v[11:12], v[8:9], v[2:3]
	v_fma_f64 v[15:16], v[13:14], v[2:3], v[6:7]
	v_fma_f64 v[2:3], v[13:14], v[2:3], -v[6:7]
	v_fma_f64 v[6:7], v[4:5], 0.5, v[11:12]
	v_fma_f64 v[11:12], v[4:5], 0.5, -v[11:12]
	v_fma_f64 v[4:5], -v[0:1], v[8:9], v[15:16]
	v_fma_f64 v[8:9], -v[0:1], v[8:9], v[2:3]
	v_fma_f64 v[2:3], v[13:14], v[0:1], v[6:7]
	v_fma_f64 v[6:7], -v[13:14], v[0:1], v[11:12]
	ds_write_b128 v58, v[2:5] offset:10560
	ds_write_b128 v10, v[6:9] offset:12672
.LBB0_27:
	s_or_b64 exec, exec, s[2:3]
	s_waitcnt lgkmcnt(0)
	s_barrier
	s_and_saveexec_b64 s[2:3], s[0:1]
	s_cbranch_execz .LBB0_30
; %bb.28:
	v_mov_b32_e32 v49, 0
	ds_read_b128 v[2:5], v58
	ds_read_b128 v[6:9], v58 offset:2112
	v_mov_b32_e32 v0, s13
	v_add_co_u32_e32 v1, vcc, s12, v50
	v_lshlrev_b64 v[10:11], 4, v[48:49]
	v_addc_co_u32_e32 v0, vcc, v0, v51, vcc
	v_add_co_u32_e32 v10, vcc, v1, v10
	v_addc_co_u32_e32 v11, vcc, v0, v11, vcc
	s_waitcnt lgkmcnt(1)
	global_store_dwordx4 v[10:11], v[2:5], off
	s_waitcnt lgkmcnt(0)
	global_store_dwordx4 v[10:11], v[6:9], off offset:2112
	ds_read_b128 v[2:5], v58 offset:4224
	ds_read_b128 v[6:9], v58 offset:6336
	v_add_co_u32_e32 v12, vcc, 0x1000, v10
	v_addc_co_u32_e32 v13, vcc, 0, v11, vcc
	s_waitcnt lgkmcnt(1)
	global_store_dwordx4 v[12:13], v[2:5], off offset:128
	s_waitcnt lgkmcnt(0)
	global_store_dwordx4 v[12:13], v[6:9], off offset:2240
	ds_read_b128 v[2:5], v58 offset:8448
	ds_read_b128 v[6:9], v58 offset:10560
	v_add_co_u32_e32 v12, vcc, 0x2000, v10
	v_addc_co_u32_e32 v13, vcc, 0, v11, vcc
	s_waitcnt lgkmcnt(1)
	global_store_dwordx4 v[12:13], v[2:5], off offset:256
	;; [unrolled: 8-line block ×4, first 2 shown]
	s_waitcnt lgkmcnt(0)
	global_store_dwordx4 v[12:13], v[6:9], off offset:2624
	ds_read_b128 v[2:5], v58 offset:21120
	v_add_co_u32_e32 v6, vcc, 0x5000, v10
	v_addc_co_u32_e32 v7, vcc, 0, v11, vcc
	s_movk_i32 s0, 0x83
	v_cmp_eq_u32_e32 vcc, s0, v48
	s_waitcnt lgkmcnt(0)
	global_store_dwordx4 v[6:7], v[2:5], off offset:640
	s_and_b64 exec, exec, vcc
	s_cbranch_execz .LBB0_30
; %bb.29:
	ds_read_b128 v[2:5], v49 offset:23232
	v_add_co_u32_e32 v6, vcc, 0x5000, v1
	v_addc_co_u32_e32 v7, vcc, 0, v0, vcc
	s_waitcnt lgkmcnt(0)
	global_store_dwordx4 v[6:7], v[2:5], off offset:2752
.LBB0_30:
	s_endpgm
	.section	.rodata,"a",@progbits
	.p2align	6, 0x0
	.amdhsa_kernel fft_rtc_back_len1452_factors_11_3_11_4_wgs_132_tpt_132_halfLds_dp_ip_CI_unitstride_sbrr_R2C_dirReg
		.amdhsa_group_segment_fixed_size 0
		.amdhsa_private_segment_fixed_size 0
		.amdhsa_kernarg_size 88
		.amdhsa_user_sgpr_count 6
		.amdhsa_user_sgpr_private_segment_buffer 1
		.amdhsa_user_sgpr_dispatch_ptr 0
		.amdhsa_user_sgpr_queue_ptr 0
		.amdhsa_user_sgpr_kernarg_segment_ptr 1
		.amdhsa_user_sgpr_dispatch_id 0
		.amdhsa_user_sgpr_flat_scratch_init 0
		.amdhsa_user_sgpr_private_segment_size 0
		.amdhsa_uses_dynamic_stack 0
		.amdhsa_system_sgpr_private_segment_wavefront_offset 0
		.amdhsa_system_sgpr_workgroup_id_x 1
		.amdhsa_system_sgpr_workgroup_id_y 0
		.amdhsa_system_sgpr_workgroup_id_z 0
		.amdhsa_system_sgpr_workgroup_info 0
		.amdhsa_system_vgpr_workitem_id 0
		.amdhsa_next_free_vgpr 118
		.amdhsa_next_free_sgpr 38
		.amdhsa_reserve_vcc 1
		.amdhsa_reserve_flat_scratch 0
		.amdhsa_float_round_mode_32 0
		.amdhsa_float_round_mode_16_64 0
		.amdhsa_float_denorm_mode_32 3
		.amdhsa_float_denorm_mode_16_64 3
		.amdhsa_dx10_clamp 1
		.amdhsa_ieee_mode 1
		.amdhsa_fp16_overflow 0
		.amdhsa_exception_fp_ieee_invalid_op 0
		.amdhsa_exception_fp_denorm_src 0
		.amdhsa_exception_fp_ieee_div_zero 0
		.amdhsa_exception_fp_ieee_overflow 0
		.amdhsa_exception_fp_ieee_underflow 0
		.amdhsa_exception_fp_ieee_inexact 0
		.amdhsa_exception_int_div_zero 0
	.end_amdhsa_kernel
	.text
.Lfunc_end0:
	.size	fft_rtc_back_len1452_factors_11_3_11_4_wgs_132_tpt_132_halfLds_dp_ip_CI_unitstride_sbrr_R2C_dirReg, .Lfunc_end0-fft_rtc_back_len1452_factors_11_3_11_4_wgs_132_tpt_132_halfLds_dp_ip_CI_unitstride_sbrr_R2C_dirReg
                                        ; -- End function
	.section	.AMDGPU.csdata,"",@progbits
; Kernel info:
; codeLenInByte = 11692
; NumSgprs: 42
; NumVgprs: 118
; ScratchSize: 0
; MemoryBound: 0
; FloatMode: 240
; IeeeMode: 1
; LDSByteSize: 0 bytes/workgroup (compile time only)
; SGPRBlocks: 5
; VGPRBlocks: 29
; NumSGPRsForWavesPerEU: 42
; NumVGPRsForWavesPerEU: 118
; Occupancy: 2
; WaveLimiterHint : 1
; COMPUTE_PGM_RSRC2:SCRATCH_EN: 0
; COMPUTE_PGM_RSRC2:USER_SGPR: 6
; COMPUTE_PGM_RSRC2:TRAP_HANDLER: 0
; COMPUTE_PGM_RSRC2:TGID_X_EN: 1
; COMPUTE_PGM_RSRC2:TGID_Y_EN: 0
; COMPUTE_PGM_RSRC2:TGID_Z_EN: 0
; COMPUTE_PGM_RSRC2:TIDIG_COMP_CNT: 0
	.type	__hip_cuid_3da8d3b4ed31208b,@object ; @__hip_cuid_3da8d3b4ed31208b
	.section	.bss,"aw",@nobits
	.globl	__hip_cuid_3da8d3b4ed31208b
__hip_cuid_3da8d3b4ed31208b:
	.byte	0                               ; 0x0
	.size	__hip_cuid_3da8d3b4ed31208b, 1

	.ident	"AMD clang version 19.0.0git (https://github.com/RadeonOpenCompute/llvm-project roc-6.4.0 25133 c7fe45cf4b819c5991fe208aaa96edf142730f1d)"
	.section	".note.GNU-stack","",@progbits
	.addrsig
	.addrsig_sym __hip_cuid_3da8d3b4ed31208b
	.amdgpu_metadata
---
amdhsa.kernels:
  - .args:
      - .actual_access:  read_only
        .address_space:  global
        .offset:         0
        .size:           8
        .value_kind:     global_buffer
      - .offset:         8
        .size:           8
        .value_kind:     by_value
      - .actual_access:  read_only
        .address_space:  global
        .offset:         16
        .size:           8
        .value_kind:     global_buffer
      - .actual_access:  read_only
        .address_space:  global
        .offset:         24
        .size:           8
        .value_kind:     global_buffer
      - .offset:         32
        .size:           8
        .value_kind:     by_value
      - .actual_access:  read_only
        .address_space:  global
        .offset:         40
        .size:           8
        .value_kind:     global_buffer
      - .actual_access:  read_only
        .address_space:  global
        .offset:         48
        .size:           8
        .value_kind:     global_buffer
      - .offset:         56
        .size:           4
        .value_kind:     by_value
      - .actual_access:  read_only
        .address_space:  global
        .offset:         64
        .size:           8
        .value_kind:     global_buffer
      - .actual_access:  read_only
        .address_space:  global
        .offset:         72
        .size:           8
        .value_kind:     global_buffer
      - .address_space:  global
        .offset:         80
        .size:           8
        .value_kind:     global_buffer
    .group_segment_fixed_size: 0
    .kernarg_segment_align: 8
    .kernarg_segment_size: 88
    .language:       OpenCL C
    .language_version:
      - 2
      - 0
    .max_flat_workgroup_size: 132
    .name:           fft_rtc_back_len1452_factors_11_3_11_4_wgs_132_tpt_132_halfLds_dp_ip_CI_unitstride_sbrr_R2C_dirReg
    .private_segment_fixed_size: 0
    .sgpr_count:     42
    .sgpr_spill_count: 0
    .symbol:         fft_rtc_back_len1452_factors_11_3_11_4_wgs_132_tpt_132_halfLds_dp_ip_CI_unitstride_sbrr_R2C_dirReg.kd
    .uniform_work_group_size: 1
    .uses_dynamic_stack: false
    .vgpr_count:     118
    .vgpr_spill_count: 0
    .wavefront_size: 64
amdhsa.target:   amdgcn-amd-amdhsa--gfx906
amdhsa.version:
  - 1
  - 2
...

	.end_amdgpu_metadata
